;; amdgpu-corpus repo=ROCm/rocSPARSE kind=compiled arch=gfx950 opt=O3
	.amdgcn_target "amdgcn-amd-amdhsa--gfx950"
	.amdhsa_code_object_version 6
	.section	.text._ZN9rocsparseL29csrgeam_fill_multipass_kernelILj256ELj32EiifEEvllNS_24const_host_device_scalarIT3_EEPKT1_PKT2_PKS2_S3_S6_S9_SB_S6_PS7_PS2_21rocsparse_index_base_SE_SE_bbb,"axG",@progbits,_ZN9rocsparseL29csrgeam_fill_multipass_kernelILj256ELj32EiifEEvllNS_24const_host_device_scalarIT3_EEPKT1_PKT2_PKS2_S3_S6_S9_SB_S6_PS7_PS2_21rocsparse_index_base_SE_SE_bbb,comdat
	.globl	_ZN9rocsparseL29csrgeam_fill_multipass_kernelILj256ELj32EiifEEvllNS_24const_host_device_scalarIT3_EEPKT1_PKT2_PKS2_S3_S6_S9_SB_S6_PS7_PS2_21rocsparse_index_base_SE_SE_bbb ; -- Begin function _ZN9rocsparseL29csrgeam_fill_multipass_kernelILj256ELj32EiifEEvllNS_24const_host_device_scalarIT3_EEPKT1_PKT2_PKS2_S3_S6_S9_SB_S6_PS7_PS2_21rocsparse_index_base_SE_SE_bbb
	.p2align	8
	.type	_ZN9rocsparseL29csrgeam_fill_multipass_kernelILj256ELj32EiifEEvllNS_24const_host_device_scalarIT3_EEPKT1_PKT2_PKS2_S3_S6_S9_SB_S6_PS7_PS2_21rocsparse_index_base_SE_SE_bbb,@function
_ZN9rocsparseL29csrgeam_fill_multipass_kernelILj256ELj32EiifEEvllNS_24const_host_device_scalarIT3_EEPKT1_PKT2_PKS2_S3_S6_S9_SB_S6_PS7_PS2_21rocsparse_index_base_SE_SE_bbb: ; @_ZN9rocsparseL29csrgeam_fill_multipass_kernelILj256ELj32EiifEEvllNS_24const_host_device_scalarIT3_EEPKT1_PKT2_PKS2_S3_S6_S9_SB_S6_PS7_PS2_21rocsparse_index_base_SE_SE_bbb
; %bb.0:
	s_load_dwordx4 s[8:11], s[0:1], 0x68
	s_load_dwordx2 s[6:7], s[0:1], 0x30
	s_load_dword s3, s[0:1], 0x74
	s_load_dwordx4 s[12:15], s[0:1], 0x0
	s_load_dwordx2 s[18:19], s[0:1], 0x10
	s_waitcnt lgkmcnt(0)
	s_bitcmp1_b32 s11, 0
	s_cselect_b64 s[4:5], -1, 0
	s_bitcmp1_b32 s3, 16
	s_cselect_b64 s[16:17], -1, 0
	s_xor_b64 s[20:21], s[4:5], -1
	s_or_b64 s[20:21], s[16:17], s[20:21]
	s_and_b64 vcc, exec, s[20:21]
	s_cbranch_vccnz .LBB0_2
; %bb.1:
	s_load_dword s4, s[18:19], 0x0
	s_waitcnt lgkmcnt(0)
	v_mov_b32_e32 v12, s4
	s_branch .LBB0_3
.LBB0_2:
	v_mov_b32_e32 v1, s18
	v_cndmask_b32_e64 v12, 0, v1, s[4:5]
.LBB0_3:
	s_bitcmp1_b32 s3, 8
	s_cselect_b64 s[4:5], -1, 0
	s_xor_b64 s[18:19], s[4:5], -1
	s_or_b64 s[16:17], s[16:17], s[18:19]
	s_and_b64 vcc, exec, s[16:17]
	s_cbranch_vccnz .LBB0_5
; %bb.4:
	s_load_dword s3, s[6:7], 0x0
	s_waitcnt lgkmcnt(0)
	v_mov_b32_e32 v13, s3
	s_branch .LBB0_6
.LBB0_5:
	v_mov_b32_e32 v1, s6
	v_cndmask_b32_e64 v13, 0, v1, s[4:5]
.LBB0_6:
	s_lshl_b32 s2, s2, 3
	v_lshrrev_b32_e32 v1, 5, v0
	s_and_b32 s2, s2, 0x7fffff8
	v_or_b32_e32 v2, s2, v1
	v_mov_b32_e32 v3, 0
	v_cmp_gt_i64_e32 vcc, s[12:13], v[2:3]
	s_and_saveexec_b64 s[2:3], vcc
	s_cbranch_execz .LBB0_37
; %bb.7:
	s_load_dwordx4 s[4:7], s[0:1], 0x18
	s_load_dwordx2 s[2:3], s[0:1], 0x38
	s_load_dwordx2 s[12:13], s[0:1], 0x50
	v_lshlrev_b32_e32 v6, 2, v2
	s_waitcnt lgkmcnt(0)
	global_load_dwordx2 v[4:5], v6, s[4:5]
	global_load_dwordx2 v[2:3], v6, s[2:3]
	global_load_dword v1, v6, s[12:13]
	s_waitcnt vmcnt(2)
	v_cmp_ge_i32_e32 vcc, v4, v5
	s_and_saveexec_b64 s[2:3], vcc
	s_xor_b64 s[2:3], exec, s[2:3]
	s_or_saveexec_b64 s[2:3], s[2:3]
	v_subrev_u32_e32 v8, s8, v4
	v_mov_b32_e32 v4, s14
	s_xor_b64 exec, exec, s[2:3]
	s_cbranch_execz .LBB0_9
; %bb.8:
	v_ashrrev_i32_e32 v9, 31, v8
	v_lshl_add_u64 v[6:7], v[8:9], 2, s[6:7]
	global_load_dword v4, v[6:7], off
	s_waitcnt vmcnt(0)
	v_subrev_u32_e32 v4, s8, v4
.LBB0_9:
	s_or_b64 exec, exec, s[2:3]
	s_load_dwordx2 s[2:3], s[0:1], 0x40
	s_waitcnt vmcnt(1)
	v_cmp_ge_i32_e32 vcc, v2, v3
	v_mov_b32_e32 v25, s14
	s_and_saveexec_b64 s[4:5], vcc
	s_xor_b64 s[4:5], exec, s[4:5]
; %bb.10:
	v_mov_b32_e32 v25, s14
; %bb.11:
	s_or_saveexec_b64 s[16:17], s[4:5]
	s_load_dwordx2 s[4:5], s[0:1], 0x48
	s_load_dwordx2 s[12:13], s[0:1], 0x28
	v_subrev_u32_e32 v10, s9, v2
	v_mov_b32_e32 v2, v25
	s_xor_b64 exec, exec, s[16:17]
	s_cbranch_execz .LBB0_13
; %bb.12:
	v_ashrrev_i32_e32 v11, 31, v10
	s_waitcnt lgkmcnt(0)
	v_lshl_add_u64 v[6:7], v[10:11], 2, s[2:3]
	global_load_dword v2, v[6:7], off
	s_waitcnt vmcnt(0)
	v_subrev_u32_e32 v2, s9, v2
.LBB0_13:
	s_or_b64 exec, exec, s[16:17]
	v_subrev_u32_e32 v15, s9, v3
	v_mbcnt_lo_u32_b32 v3, -1, 0
	v_mbcnt_hi_u32_b32 v3, -1, v3
	v_and_b32_e32 v6, 0xe0, v0
	v_subrev_u32_e32 v14, s8, v5
	s_waitcnt vmcnt(0)
	v_subrev_u32_e32 v16, s10, v1
	v_and_b32_e32 v1, 31, v0
	v_and_b32_e32 v5, 64, v3
	v_bitop3_b32 v0, v0, 31, v0 bitop3:0xc
	v_or_b32_e32 v9, 0x400, v6
	v_lshlrev_b32_e32 v11, 2, v6
	v_min_i32_e32 v6, v2, v4
	v_add_u32_e32 v4, v10, v1
	v_add_u32_e32 v5, 64, v5
	v_lshrrev_b32_e64 v10, v0, -1
	v_xor_b32_e32 v0, 16, v3
	v_cmp_lt_i32_e32 vcc, v0, v5
	s_load_dwordx4 s[16:19], s[0:1], 0x58
	v_add_u32_e32 v2, v8, v1
	v_cndmask_b32_e32 v0, v3, v0, vcc
	v_lshlrev_b32_e32 v18, 2, v0
	v_xor_b32_e32 v0, 8, v3
	v_cmp_lt_i32_e32 vcc, v0, v5
	v_lshl_or_b32 v8, v1, 2, v11
	v_add_u32_e32 v17, s10, v1
	v_cndmask_b32_e32 v0, v3, v0, vcc
	v_lshlrev_b32_e32 v19, 2, v0
	v_xor_b32_e32 v0, 4, v3
	v_cmp_lt_i32_e32 vcc, v0, v5
	s_mov_b64 s[10:11], 0
	v_add_u32_e32 v23, v9, v1
	v_cndmask_b32_e32 v0, v3, v0, vcc
	v_lshlrev_b32_e32 v20, 2, v0
	v_xor_b32_e32 v0, 2, v3
	v_cmp_lt_i32_e32 vcc, v0, v5
	v_mov_b32_e32 v1, 0
	v_mov_b32_e32 v24, 1
	v_cndmask_b32_e32 v0, v3, v0, vcc
	v_lshlrev_b32_e32 v21, 2, v0
	v_xor_b32_e32 v0, 1, v3
	v_cmp_lt_i32_e32 vcc, v0, v5
	s_nop 1
	v_cndmask_b32_e32 v0, v3, v0, vcc
	v_lshlrev_b32_e32 v22, 2, v0
	s_branch .LBB0_15
.LBB0_14:                               ;   in Loop: Header=BB0_15 Depth=1
	s_or_b64 exec, exec, s[20:21]
	ds_bpermute_b32 v0, v18, v7
	s_bcnt1_i32_b64 s0, vcc
	v_add_u32_e32 v16, s0, v16
	s_waitcnt lgkmcnt(0)
	v_min_i32_e32 v0, v0, v7
	ds_bpermute_b32 v3, v19, v0
	s_waitcnt lgkmcnt(0)
	v_min_i32_e32 v0, v3, v0
	ds_bpermute_b32 v3, v20, v0
	;; [unrolled: 3-line block ×4, first 2 shown]
	s_waitcnt lgkmcnt(0)
	v_min_i32_e32 v6, v3, v0
	v_ashrrev_i32_e32 v7, 31, v6
	v_cmp_le_i64_e32 vcc, s[14:15], v[6:7]
	s_or_b64 s[10:11], vcc, s[10:11]
	s_andn2_b64 exec, exec, s[10:11]
	s_cbranch_execz .LBB0_37
.LBB0_15:                               ; =>This Loop Header: Depth=1
                                        ;     Child Loop BB0_18 Depth 2
                                        ;     Child Loop BB0_28 Depth 2
	v_cmp_lt_i32_e32 vcc, v2, v14
	v_mov_b32_e32 v7, v25
	ds_write_b8 v23, v1
	ds_write_b32 v8, v1
	s_waitcnt lgkmcnt(0)
	s_and_saveexec_b64 s[20:21], vcc
	s_cbranch_execz .LBB0_25
; %bb.16:                               ;   in Loop: Header=BB0_15 Depth=1
	s_mov_b64 s[22:23], 0
	v_mov_b32_e32 v7, v25
	s_branch .LBB0_18
.LBB0_17:                               ;   in Loop: Header=BB0_18 Depth=2
	s_or_b64 exec, exec, s[24:25]
	s_and_b64 s[0:1], exec, s[0:1]
	s_or_b64 s[22:23], s[0:1], s[22:23]
	s_andn2_b64 exec, exec, s[22:23]
	s_cbranch_execz .LBB0_24
.LBB0_18:                               ;   Parent Loop BB0_15 Depth=1
                                        ; =>  This Inner Loop Header: Depth=2
	v_ashrrev_i32_e32 v3, 31, v2
	v_lshl_add_u64 v[26:27], v[2:3], 2, s[6:7]
	global_load_dword v0, v[26:27], off
	s_waitcnt vmcnt(0)
	v_subrev_u32_e32 v5, s8, v0
	v_sub_u32_e32 v0, v5, v6
	v_cmp_gt_u32_e32 vcc, 32, v0
	v_cmp_lt_u32_e64 s[0:1], 31, v0
	s_and_saveexec_b64 s[24:25], s[0:1]
	s_xor_b64 s[0:1], exec, s[24:25]
	s_cbranch_execnz .LBB0_21
; %bb.19:                               ;   in Loop: Header=BB0_18 Depth=2
	s_andn2_saveexec_b64 s[0:1], s[0:1]
	s_cbranch_execnz .LBB0_22
.LBB0_20:                               ;   in Loop: Header=BB0_18 Depth=2
	s_or_b64 exec, exec, s[0:1]
	s_mov_b64 s[0:1], -1
	s_and_saveexec_b64 s[24:25], vcc
	s_cbranch_execz .LBB0_17
	s_branch .LBB0_23
.LBB0_21:                               ;   in Loop: Header=BB0_18 Depth=2
	v_min_i32_e32 v7, v5, v7
                                        ; implicit-def: $vgpr0
	s_andn2_saveexec_b64 s[0:1], s[0:1]
	s_cbranch_execz .LBB0_20
.LBB0_22:                               ;   in Loop: Header=BB0_18 Depth=2
	v_lshl_add_u64 v[26:27], v[2:3], 2, s[12:13]
	global_load_dword v3, v[26:27], off
	v_add_u32_e32 v5, v9, v0
	v_lshl_add_u32 v0, v0, 2, v11
	ds_write_b8 v5, v24
	s_waitcnt vmcnt(0)
	v_mul_f32_e32 v3, v12, v3
	ds_write_b32 v0, v3
	s_or_b64 exec, exec, s[0:1]
	s_mov_b64 s[0:1], -1
	s_and_saveexec_b64 s[24:25], vcc
	s_cbranch_execz .LBB0_17
.LBB0_23:                               ;   in Loop: Header=BB0_18 Depth=2
	v_add_u32_e32 v2, 32, v2
	v_cmp_ge_i32_e32 vcc, v2, v14
	s_orn2_b64 s[0:1], vcc, exec
	s_branch .LBB0_17
.LBB0_24:                               ;   in Loop: Header=BB0_15 Depth=1
	s_or_b64 exec, exec, s[22:23]
.LBB0_25:                               ;   in Loop: Header=BB0_15 Depth=1
	s_or_b64 exec, exec, s[20:21]
	v_cmp_lt_i32_e32 vcc, v4, v15
	s_waitcnt lgkmcnt(0)
	s_and_saveexec_b64 s[20:21], vcc
	s_cbranch_execz .LBB0_35
; %bb.26:                               ;   in Loop: Header=BB0_15 Depth=1
	s_mov_b64 s[22:23], 0
	s_branch .LBB0_28
.LBB0_27:                               ;   in Loop: Header=BB0_28 Depth=2
	s_or_b64 exec, exec, s[24:25]
	s_and_b64 s[0:1], exec, s[0:1]
	s_or_b64 s[22:23], s[0:1], s[22:23]
	s_andn2_b64 exec, exec, s[22:23]
	s_cbranch_execz .LBB0_34
.LBB0_28:                               ;   Parent Loop BB0_15 Depth=1
                                        ; =>  This Inner Loop Header: Depth=2
	v_ashrrev_i32_e32 v5, 31, v4
	v_lshl_add_u64 v[26:27], v[4:5], 2, s[2:3]
	global_load_dword v0, v[26:27], off
	s_waitcnt vmcnt(0)
	v_subrev_u32_e32 v3, s9, v0
	v_sub_u32_e32 v0, v3, v6
	v_cmp_gt_u32_e32 vcc, 32, v0
	v_cmp_lt_u32_e64 s[0:1], 31, v0
	s_and_saveexec_b64 s[24:25], s[0:1]
	s_xor_b64 s[0:1], exec, s[24:25]
	s_cbranch_execnz .LBB0_31
; %bb.29:                               ;   in Loop: Header=BB0_28 Depth=2
	s_andn2_saveexec_b64 s[0:1], s[0:1]
	s_cbranch_execnz .LBB0_32
.LBB0_30:                               ;   in Loop: Header=BB0_28 Depth=2
	s_or_b64 exec, exec, s[0:1]
	s_mov_b64 s[0:1], -1
	s_and_saveexec_b64 s[24:25], vcc
	s_cbranch_execz .LBB0_27
	s_branch .LBB0_33
.LBB0_31:                               ;   in Loop: Header=BB0_28 Depth=2
	v_min_i32_e32 v7, v3, v7
                                        ; implicit-def: $vgpr0
	s_andn2_saveexec_b64 s[0:1], s[0:1]
	s_cbranch_execz .LBB0_30
.LBB0_32:                               ;   in Loop: Header=BB0_28 Depth=2
	v_lshl_add_u64 v[26:27], v[4:5], 2, s[4:5]
	global_load_dword v3, v[26:27], off
	v_lshl_add_u32 v5, v0, 2, v11
	ds_read_b32 v26, v5
	v_add_u32_e32 v0, v9, v0
	ds_write_b8 v0, v24
	s_waitcnt vmcnt(0) lgkmcnt(1)
	v_fmac_f32_e32 v26, v13, v3
	ds_write_b32 v5, v26
	s_or_b64 exec, exec, s[0:1]
	s_mov_b64 s[0:1], -1
	s_and_saveexec_b64 s[24:25], vcc
	s_cbranch_execz .LBB0_27
.LBB0_33:                               ;   in Loop: Header=BB0_28 Depth=2
	v_add_u32_e32 v4, 32, v4
	v_cmp_ge_i32_e32 vcc, v4, v15
	s_orn2_b64 s[0:1], vcc, exec
	s_branch .LBB0_27
.LBB0_34:                               ;   in Loop: Header=BB0_15 Depth=1
	s_or_b64 exec, exec, s[22:23]
.LBB0_35:                               ;   in Loop: Header=BB0_15 Depth=1
	s_or_b64 exec, exec, s[20:21]
	s_waitcnt lgkmcnt(0)
	ds_read_u8 v0, v23
	s_waitcnt lgkmcnt(0)
	v_and_b32_e32 v3, 1, v0
	v_cmp_eq_u32_e64 s[0:1], 1, v3
	v_cmp_ne_u16_e32 vcc, 0, v0
	s_and_saveexec_b64 s[20:21], s[0:1]
	s_cbranch_execz .LBB0_14
; %bb.36:                               ;   in Loop: Header=BB0_15 Depth=1
	v_and_b32_e32 v0, vcc_lo, v10
	v_bcnt_u32_b32 v0, v0, 0
	v_add3_u32 v0, v16, v0, -1
	v_lshlrev_b64 v[26:27], 2, v[0:1]
	ds_read_b32 v0, v8
	v_lshl_add_u64 v[28:29], s[18:19], 0, v[26:27]
	v_lshl_add_u64 v[26:27], s[16:17], 0, v[26:27]
	v_add_u32_e32 v3, v17, v6
	global_store_dword v[26:27], v3, off
	s_waitcnt lgkmcnt(0)
	global_store_dword v[28:29], v0, off
	s_branch .LBB0_14
.LBB0_37:
	s_endpgm
	.section	.rodata,"a",@progbits
	.p2align	6, 0x0
	.amdhsa_kernel _ZN9rocsparseL29csrgeam_fill_multipass_kernelILj256ELj32EiifEEvllNS_24const_host_device_scalarIT3_EEPKT1_PKT2_PKS2_S3_S6_S9_SB_S6_PS7_PS2_21rocsparse_index_base_SE_SE_bbb
		.amdhsa_group_segment_fixed_size 1280
		.amdhsa_private_segment_fixed_size 0
		.amdhsa_kernarg_size 120
		.amdhsa_user_sgpr_count 2
		.amdhsa_user_sgpr_dispatch_ptr 0
		.amdhsa_user_sgpr_queue_ptr 0
		.amdhsa_user_sgpr_kernarg_segment_ptr 1
		.amdhsa_user_sgpr_dispatch_id 0
		.amdhsa_user_sgpr_kernarg_preload_length 0
		.amdhsa_user_sgpr_kernarg_preload_offset 0
		.amdhsa_user_sgpr_private_segment_size 0
		.amdhsa_uses_dynamic_stack 0
		.amdhsa_enable_private_segment 0
		.amdhsa_system_sgpr_workgroup_id_x 1
		.amdhsa_system_sgpr_workgroup_id_y 0
		.amdhsa_system_sgpr_workgroup_id_z 0
		.amdhsa_system_sgpr_workgroup_info 0
		.amdhsa_system_vgpr_workitem_id 0
		.amdhsa_next_free_vgpr 30
		.amdhsa_next_free_sgpr 26
		.amdhsa_accum_offset 32
		.amdhsa_reserve_vcc 1
		.amdhsa_float_round_mode_32 0
		.amdhsa_float_round_mode_16_64 0
		.amdhsa_float_denorm_mode_32 3
		.amdhsa_float_denorm_mode_16_64 3
		.amdhsa_dx10_clamp 1
		.amdhsa_ieee_mode 1
		.amdhsa_fp16_overflow 0
		.amdhsa_tg_split 0
		.amdhsa_exception_fp_ieee_invalid_op 0
		.amdhsa_exception_fp_denorm_src 0
		.amdhsa_exception_fp_ieee_div_zero 0
		.amdhsa_exception_fp_ieee_overflow 0
		.amdhsa_exception_fp_ieee_underflow 0
		.amdhsa_exception_fp_ieee_inexact 0
		.amdhsa_exception_int_div_zero 0
	.end_amdhsa_kernel
	.section	.text._ZN9rocsparseL29csrgeam_fill_multipass_kernelILj256ELj32EiifEEvllNS_24const_host_device_scalarIT3_EEPKT1_PKT2_PKS2_S3_S6_S9_SB_S6_PS7_PS2_21rocsparse_index_base_SE_SE_bbb,"axG",@progbits,_ZN9rocsparseL29csrgeam_fill_multipass_kernelILj256ELj32EiifEEvllNS_24const_host_device_scalarIT3_EEPKT1_PKT2_PKS2_S3_S6_S9_SB_S6_PS7_PS2_21rocsparse_index_base_SE_SE_bbb,comdat
.Lfunc_end0:
	.size	_ZN9rocsparseL29csrgeam_fill_multipass_kernelILj256ELj32EiifEEvllNS_24const_host_device_scalarIT3_EEPKT1_PKT2_PKS2_S3_S6_S9_SB_S6_PS7_PS2_21rocsparse_index_base_SE_SE_bbb, .Lfunc_end0-_ZN9rocsparseL29csrgeam_fill_multipass_kernelILj256ELj32EiifEEvllNS_24const_host_device_scalarIT3_EEPKT1_PKT2_PKS2_S3_S6_S9_SB_S6_PS7_PS2_21rocsparse_index_base_SE_SE_bbb
                                        ; -- End function
	.set _ZN9rocsparseL29csrgeam_fill_multipass_kernelILj256ELj32EiifEEvllNS_24const_host_device_scalarIT3_EEPKT1_PKT2_PKS2_S3_S6_S9_SB_S6_PS7_PS2_21rocsparse_index_base_SE_SE_bbb.num_vgpr, 30
	.set _ZN9rocsparseL29csrgeam_fill_multipass_kernelILj256ELj32EiifEEvllNS_24const_host_device_scalarIT3_EEPKT1_PKT2_PKS2_S3_S6_S9_SB_S6_PS7_PS2_21rocsparse_index_base_SE_SE_bbb.num_agpr, 0
	.set _ZN9rocsparseL29csrgeam_fill_multipass_kernelILj256ELj32EiifEEvllNS_24const_host_device_scalarIT3_EEPKT1_PKT2_PKS2_S3_S6_S9_SB_S6_PS7_PS2_21rocsparse_index_base_SE_SE_bbb.numbered_sgpr, 26
	.set _ZN9rocsparseL29csrgeam_fill_multipass_kernelILj256ELj32EiifEEvllNS_24const_host_device_scalarIT3_EEPKT1_PKT2_PKS2_S3_S6_S9_SB_S6_PS7_PS2_21rocsparse_index_base_SE_SE_bbb.num_named_barrier, 0
	.set _ZN9rocsparseL29csrgeam_fill_multipass_kernelILj256ELj32EiifEEvllNS_24const_host_device_scalarIT3_EEPKT1_PKT2_PKS2_S3_S6_S9_SB_S6_PS7_PS2_21rocsparse_index_base_SE_SE_bbb.private_seg_size, 0
	.set _ZN9rocsparseL29csrgeam_fill_multipass_kernelILj256ELj32EiifEEvllNS_24const_host_device_scalarIT3_EEPKT1_PKT2_PKS2_S3_S6_S9_SB_S6_PS7_PS2_21rocsparse_index_base_SE_SE_bbb.uses_vcc, 1
	.set _ZN9rocsparseL29csrgeam_fill_multipass_kernelILj256ELj32EiifEEvllNS_24const_host_device_scalarIT3_EEPKT1_PKT2_PKS2_S3_S6_S9_SB_S6_PS7_PS2_21rocsparse_index_base_SE_SE_bbb.uses_flat_scratch, 0
	.set _ZN9rocsparseL29csrgeam_fill_multipass_kernelILj256ELj32EiifEEvllNS_24const_host_device_scalarIT3_EEPKT1_PKT2_PKS2_S3_S6_S9_SB_S6_PS7_PS2_21rocsparse_index_base_SE_SE_bbb.has_dyn_sized_stack, 0
	.set _ZN9rocsparseL29csrgeam_fill_multipass_kernelILj256ELj32EiifEEvllNS_24const_host_device_scalarIT3_EEPKT1_PKT2_PKS2_S3_S6_S9_SB_S6_PS7_PS2_21rocsparse_index_base_SE_SE_bbb.has_recursion, 0
	.set _ZN9rocsparseL29csrgeam_fill_multipass_kernelILj256ELj32EiifEEvllNS_24const_host_device_scalarIT3_EEPKT1_PKT2_PKS2_S3_S6_S9_SB_S6_PS7_PS2_21rocsparse_index_base_SE_SE_bbb.has_indirect_call, 0
	.section	.AMDGPU.csdata,"",@progbits
; Kernel info:
; codeLenInByte = 1376
; TotalNumSgprs: 32
; NumVgprs: 30
; NumAgprs: 0
; TotalNumVgprs: 30
; ScratchSize: 0
; MemoryBound: 0
; FloatMode: 240
; IeeeMode: 1
; LDSByteSize: 1280 bytes/workgroup (compile time only)
; SGPRBlocks: 3
; VGPRBlocks: 3
; NumSGPRsForWavesPerEU: 32
; NumVGPRsForWavesPerEU: 30
; AccumOffset: 32
; Occupancy: 8
; WaveLimiterHint : 1
; COMPUTE_PGM_RSRC2:SCRATCH_EN: 0
; COMPUTE_PGM_RSRC2:USER_SGPR: 2
; COMPUTE_PGM_RSRC2:TRAP_HANDLER: 0
; COMPUTE_PGM_RSRC2:TGID_X_EN: 1
; COMPUTE_PGM_RSRC2:TGID_Y_EN: 0
; COMPUTE_PGM_RSRC2:TGID_Z_EN: 0
; COMPUTE_PGM_RSRC2:TIDIG_COMP_CNT: 0
; COMPUTE_PGM_RSRC3_GFX90A:ACCUM_OFFSET: 7
; COMPUTE_PGM_RSRC3_GFX90A:TG_SPLIT: 0
	.section	.text._ZN9rocsparseL29csrgeam_fill_multipass_kernelILj256ELj64EiifEEvllNS_24const_host_device_scalarIT3_EEPKT1_PKT2_PKS2_S3_S6_S9_SB_S6_PS7_PS2_21rocsparse_index_base_SE_SE_bbb,"axG",@progbits,_ZN9rocsparseL29csrgeam_fill_multipass_kernelILj256ELj64EiifEEvllNS_24const_host_device_scalarIT3_EEPKT1_PKT2_PKS2_S3_S6_S9_SB_S6_PS7_PS2_21rocsparse_index_base_SE_SE_bbb,comdat
	.globl	_ZN9rocsparseL29csrgeam_fill_multipass_kernelILj256ELj64EiifEEvllNS_24const_host_device_scalarIT3_EEPKT1_PKT2_PKS2_S3_S6_S9_SB_S6_PS7_PS2_21rocsparse_index_base_SE_SE_bbb ; -- Begin function _ZN9rocsparseL29csrgeam_fill_multipass_kernelILj256ELj64EiifEEvllNS_24const_host_device_scalarIT3_EEPKT1_PKT2_PKS2_S3_S6_S9_SB_S6_PS7_PS2_21rocsparse_index_base_SE_SE_bbb
	.p2align	8
	.type	_ZN9rocsparseL29csrgeam_fill_multipass_kernelILj256ELj64EiifEEvllNS_24const_host_device_scalarIT3_EEPKT1_PKT2_PKS2_S3_S6_S9_SB_S6_PS7_PS2_21rocsparse_index_base_SE_SE_bbb,@function
_ZN9rocsparseL29csrgeam_fill_multipass_kernelILj256ELj64EiifEEvllNS_24const_host_device_scalarIT3_EEPKT1_PKT2_PKS2_S3_S6_S9_SB_S6_PS7_PS2_21rocsparse_index_base_SE_SE_bbb: ; @_ZN9rocsparseL29csrgeam_fill_multipass_kernelILj256ELj64EiifEEvllNS_24const_host_device_scalarIT3_EEPKT1_PKT2_PKS2_S3_S6_S9_SB_S6_PS7_PS2_21rocsparse_index_base_SE_SE_bbb
; %bb.0:
	s_load_dwordx4 s[8:11], s[0:1], 0x68
	s_load_dwordx2 s[6:7], s[0:1], 0x30
	s_load_dword s3, s[0:1], 0x74
	s_load_dwordx4 s[12:15], s[0:1], 0x0
	s_load_dwordx2 s[18:19], s[0:1], 0x10
	s_waitcnt lgkmcnt(0)
	s_bitcmp1_b32 s11, 0
	s_cselect_b64 s[4:5], -1, 0
	s_bitcmp1_b32 s3, 16
	s_cselect_b64 s[16:17], -1, 0
	s_xor_b64 s[20:21], s[4:5], -1
	s_or_b64 s[20:21], s[16:17], s[20:21]
	s_and_b64 vcc, exec, s[20:21]
	s_cbranch_vccnz .LBB1_2
; %bb.1:
	s_load_dword s4, s[18:19], 0x0
	s_waitcnt lgkmcnt(0)
	v_mov_b32_e32 v12, s4
	s_branch .LBB1_3
.LBB1_2:
	v_mov_b32_e32 v1, s18
	v_cndmask_b32_e64 v12, 0, v1, s[4:5]
.LBB1_3:
	s_bitcmp1_b32 s3, 8
	s_cselect_b64 s[4:5], -1, 0
	s_xor_b64 s[18:19], s[4:5], -1
	s_or_b64 s[16:17], s[16:17], s[18:19]
	s_and_b64 vcc, exec, s[16:17]
	s_cbranch_vccnz .LBB1_5
; %bb.4:
	s_load_dword s3, s[6:7], 0x0
	s_waitcnt lgkmcnt(0)
	v_mov_b32_e32 v13, s3
	s_branch .LBB1_6
.LBB1_5:
	v_mov_b32_e32 v1, s6
	v_cndmask_b32_e64 v13, 0, v1, s[4:5]
.LBB1_6:
	s_lshl_b32 s2, s2, 2
	v_lshrrev_b32_e32 v1, 6, v0
	s_and_b32 s2, s2, 0x3fffffc
	v_or_b32_e32 v2, s2, v1
	v_mov_b32_e32 v3, 0
	v_cmp_gt_i64_e32 vcc, s[12:13], v[2:3]
	s_and_saveexec_b64 s[2:3], vcc
	s_cbranch_execz .LBB1_37
; %bb.7:
	s_load_dwordx4 s[4:7], s[0:1], 0x18
	s_load_dwordx2 s[2:3], s[0:1], 0x38
	s_load_dwordx2 s[12:13], s[0:1], 0x50
	v_lshlrev_b32_e32 v6, 2, v2
	s_waitcnt lgkmcnt(0)
	global_load_dwordx2 v[4:5], v6, s[4:5]
	global_load_dwordx2 v[2:3], v6, s[2:3]
	global_load_dword v1, v6, s[12:13]
	s_waitcnt vmcnt(2)
	v_cmp_ge_i32_e32 vcc, v4, v5
	s_and_saveexec_b64 s[2:3], vcc
	s_xor_b64 s[2:3], exec, s[2:3]
	s_or_saveexec_b64 s[2:3], s[2:3]
	v_subrev_u32_e32 v8, s8, v4
	v_mov_b32_e32 v4, s14
	s_xor_b64 exec, exec, s[2:3]
	s_cbranch_execz .LBB1_9
; %bb.8:
	v_ashrrev_i32_e32 v9, 31, v8
	v_lshl_add_u64 v[6:7], v[8:9], 2, s[6:7]
	global_load_dword v4, v[6:7], off
	s_waitcnt vmcnt(0)
	v_subrev_u32_e32 v4, s8, v4
.LBB1_9:
	s_or_b64 exec, exec, s[2:3]
	s_load_dwordx2 s[2:3], s[0:1], 0x40
	s_waitcnt vmcnt(1)
	v_cmp_ge_i32_e32 vcc, v2, v3
	v_mov_b32_e32 v27, s14
	s_and_saveexec_b64 s[4:5], vcc
	s_xor_b64 s[4:5], exec, s[4:5]
; %bb.10:
	v_mov_b32_e32 v27, s14
; %bb.11:
	s_or_saveexec_b64 s[16:17], s[4:5]
	s_load_dwordx2 s[4:5], s[0:1], 0x48
	s_load_dwordx2 s[12:13], s[0:1], 0x28
	v_subrev_u32_e32 v10, s9, v2
	v_mov_b32_e32 v2, v27
	s_xor_b64 exec, exec, s[16:17]
	s_cbranch_execz .LBB1_13
; %bb.12:
	v_ashrrev_i32_e32 v11, 31, v10
	s_waitcnt lgkmcnt(0)
	v_lshl_add_u64 v[6:7], v[10:11], 2, s[2:3]
	global_load_dword v2, v[6:7], off
	s_waitcnt vmcnt(0)
	v_subrev_u32_e32 v2, s9, v2
.LBB1_13:
	s_or_b64 exec, exec, s[16:17]
	s_waitcnt vmcnt(0)
	v_subrev_u32_e32 v17, s10, v1
	v_mbcnt_lo_u32_b32 v1, -1, 0
	v_subrev_u32_e32 v15, s8, v5
	v_mbcnt_hi_u32_b32 v5, -1, v1
	v_and_b32_e32 v6, 0xc0, v0
	v_subrev_u32_e32 v16, s9, v3
	v_and_b32_e32 v3, 63, v0
	v_and_b32_e32 v1, 64, v5
	v_or_b32_e32 v11, 0x400, v6
	v_lshlrev_b32_e32 v14, 2, v6
	v_min_i32_e32 v6, v2, v4
	v_add_u32_e32 v2, v8, v3
	v_add_u32_e32 v7, 64, v1
	v_xor_b32_e32 v8, 32, v5
	v_cmp_lt_i32_e32 vcc, v8, v7
	s_load_dwordx4 s[16:19], s[0:1], 0x58
	v_bitop3_b32 v0, v0, 63, v0 bitop3:0xc
	v_cndmask_b32_e32 v8, v5, v8, vcc
	v_lshlrev_b32_e32 v19, 2, v8
	v_xor_b32_e32 v8, 16, v5
	v_cmp_lt_i32_e32 vcc, v8, v7
	v_add_u32_e32 v4, v10, v3
	v_lshl_or_b32 v10, v3, 2, v14
	v_cndmask_b32_e32 v8, v5, v8, vcc
	v_lshlrev_b32_e32 v20, 2, v8
	v_xor_b32_e32 v8, 8, v5
	v_cmp_lt_i32_e32 vcc, v8, v7
	v_lshrrev_b64 v[0:1], v0, -1
	v_add_u32_e32 v18, s10, v3
	v_cndmask_b32_e32 v8, v5, v8, vcc
	v_lshlrev_b32_e32 v21, 2, v8
	v_xor_b32_e32 v8, 4, v5
	v_cmp_lt_i32_e32 vcc, v8, v7
	s_mov_b64 s[10:11], 0
	v_add_u32_e32 v25, v11, v3
	v_cndmask_b32_e32 v8, v5, v8, vcc
	v_lshlrev_b32_e32 v22, 2, v8
	v_xor_b32_e32 v8, 2, v5
	v_cmp_lt_i32_e32 vcc, v8, v7
	v_mov_b32_e32 v9, 0
	v_mov_b32_e32 v26, 1
	v_cndmask_b32_e32 v8, v5, v8, vcc
	v_lshlrev_b32_e32 v23, 2, v8
	v_xor_b32_e32 v8, 1, v5
	v_cmp_lt_i32_e32 vcc, v8, v7
	s_nop 1
	v_cndmask_b32_e32 v5, v5, v8, vcc
	v_lshlrev_b32_e32 v24, 2, v5
	s_branch .LBB1_15
.LBB1_14:                               ;   in Loop: Header=BB1_15 Depth=1
	s_or_b64 exec, exec, s[20:21]
	ds_bpermute_b32 v3, v19, v7
	s_bcnt1_i32_b64 s0, vcc
	v_add_u32_e32 v17, s0, v17
	s_waitcnt lgkmcnt(0)
	v_min_i32_e32 v3, v3, v7
	ds_bpermute_b32 v5, v20, v3
	s_waitcnt lgkmcnt(0)
	v_min_i32_e32 v3, v5, v3
	ds_bpermute_b32 v5, v21, v3
	;; [unrolled: 3-line block ×5, first 2 shown]
	s_waitcnt lgkmcnt(0)
	v_min_i32_e32 v6, v5, v3
	v_ashrrev_i32_e32 v7, 31, v6
	v_cmp_le_i64_e32 vcc, s[14:15], v[6:7]
	s_or_b64 s[10:11], vcc, s[10:11]
	s_andn2_b64 exec, exec, s[10:11]
	s_cbranch_execz .LBB1_37
.LBB1_15:                               ; =>This Loop Header: Depth=1
                                        ;     Child Loop BB1_18 Depth 2
                                        ;     Child Loop BB1_28 Depth 2
	v_cmp_lt_i32_e32 vcc, v2, v15
	v_mov_b32_e32 v7, v27
	ds_write_b8 v25, v9
	ds_write_b32 v10, v9
	s_waitcnt lgkmcnt(0)
	s_and_saveexec_b64 s[20:21], vcc
	s_cbranch_execz .LBB1_25
; %bb.16:                               ;   in Loop: Header=BB1_15 Depth=1
	s_mov_b64 s[22:23], 0
	v_mov_b32_e32 v7, v27
	s_branch .LBB1_18
.LBB1_17:                               ;   in Loop: Header=BB1_18 Depth=2
	s_or_b64 exec, exec, s[24:25]
	s_and_b64 s[0:1], exec, s[0:1]
	s_or_b64 s[22:23], s[0:1], s[22:23]
	s_andn2_b64 exec, exec, s[22:23]
	s_cbranch_execz .LBB1_24
.LBB1_18:                               ;   Parent Loop BB1_15 Depth=1
                                        ; =>  This Inner Loop Header: Depth=2
	v_ashrrev_i32_e32 v3, 31, v2
	v_lshl_add_u64 v[28:29], v[2:3], 2, s[6:7]
	global_load_dword v5, v[28:29], off
	s_waitcnt vmcnt(0)
	v_subrev_u32_e32 v8, s8, v5
	v_sub_u32_e32 v5, v8, v6
	v_cmp_gt_u32_e32 vcc, 64, v5
	v_cmp_lt_u32_e64 s[0:1], 63, v5
	s_and_saveexec_b64 s[24:25], s[0:1]
	s_xor_b64 s[0:1], exec, s[24:25]
	s_cbranch_execnz .LBB1_21
; %bb.19:                               ;   in Loop: Header=BB1_18 Depth=2
	s_andn2_saveexec_b64 s[0:1], s[0:1]
	s_cbranch_execnz .LBB1_22
.LBB1_20:                               ;   in Loop: Header=BB1_18 Depth=2
	s_or_b64 exec, exec, s[0:1]
	s_mov_b64 s[0:1], -1
	s_and_saveexec_b64 s[24:25], vcc
	s_cbranch_execz .LBB1_17
	s_branch .LBB1_23
.LBB1_21:                               ;   in Loop: Header=BB1_18 Depth=2
	v_min_i32_e32 v7, v8, v7
                                        ; implicit-def: $vgpr5
	s_andn2_saveexec_b64 s[0:1], s[0:1]
	s_cbranch_execz .LBB1_20
.LBB1_22:                               ;   in Loop: Header=BB1_18 Depth=2
	v_lshl_add_u64 v[28:29], v[2:3], 2, s[12:13]
	global_load_dword v3, v[28:29], off
	v_add_u32_e32 v8, v11, v5
	v_lshl_add_u32 v5, v5, 2, v14
	ds_write_b8 v8, v26
	s_waitcnt vmcnt(0)
	v_mul_f32_e32 v3, v12, v3
	ds_write_b32 v5, v3
	s_or_b64 exec, exec, s[0:1]
	s_mov_b64 s[0:1], -1
	s_and_saveexec_b64 s[24:25], vcc
	s_cbranch_execz .LBB1_17
.LBB1_23:                               ;   in Loop: Header=BB1_18 Depth=2
	v_add_u32_e32 v2, 64, v2
	v_cmp_ge_i32_e32 vcc, v2, v15
	s_orn2_b64 s[0:1], vcc, exec
	s_branch .LBB1_17
.LBB1_24:                               ;   in Loop: Header=BB1_15 Depth=1
	s_or_b64 exec, exec, s[22:23]
.LBB1_25:                               ;   in Loop: Header=BB1_15 Depth=1
	s_or_b64 exec, exec, s[20:21]
	v_cmp_lt_i32_e32 vcc, v4, v16
	s_waitcnt lgkmcnt(0)
	s_and_saveexec_b64 s[20:21], vcc
	s_cbranch_execz .LBB1_35
; %bb.26:                               ;   in Loop: Header=BB1_15 Depth=1
	s_mov_b64 s[22:23], 0
	s_branch .LBB1_28
.LBB1_27:                               ;   in Loop: Header=BB1_28 Depth=2
	s_or_b64 exec, exec, s[24:25]
	s_and_b64 s[0:1], exec, s[0:1]
	s_or_b64 s[22:23], s[0:1], s[22:23]
	s_andn2_b64 exec, exec, s[22:23]
	s_cbranch_execz .LBB1_34
.LBB1_28:                               ;   Parent Loop BB1_15 Depth=1
                                        ; =>  This Inner Loop Header: Depth=2
	v_ashrrev_i32_e32 v5, 31, v4
	v_lshl_add_u64 v[28:29], v[4:5], 2, s[2:3]
	global_load_dword v3, v[28:29], off
	s_waitcnt vmcnt(0)
	v_subrev_u32_e32 v8, s9, v3
	v_sub_u32_e32 v3, v8, v6
	v_cmp_gt_u32_e32 vcc, 64, v3
	v_cmp_lt_u32_e64 s[0:1], 63, v3
	s_and_saveexec_b64 s[24:25], s[0:1]
	s_xor_b64 s[0:1], exec, s[24:25]
	s_cbranch_execnz .LBB1_31
; %bb.29:                               ;   in Loop: Header=BB1_28 Depth=2
	s_andn2_saveexec_b64 s[0:1], s[0:1]
	s_cbranch_execnz .LBB1_32
.LBB1_30:                               ;   in Loop: Header=BB1_28 Depth=2
	s_or_b64 exec, exec, s[0:1]
	s_mov_b64 s[0:1], -1
	s_and_saveexec_b64 s[24:25], vcc
	s_cbranch_execz .LBB1_27
	s_branch .LBB1_33
.LBB1_31:                               ;   in Loop: Header=BB1_28 Depth=2
	v_min_i32_e32 v7, v8, v7
                                        ; implicit-def: $vgpr3
	s_andn2_saveexec_b64 s[0:1], s[0:1]
	s_cbranch_execz .LBB1_30
.LBB1_32:                               ;   in Loop: Header=BB1_28 Depth=2
	v_lshl_add_u64 v[28:29], v[4:5], 2, s[4:5]
	global_load_dword v5, v[28:29], off
	v_lshl_add_u32 v8, v3, 2, v14
	ds_read_b32 v28, v8
	v_add_u32_e32 v3, v11, v3
	ds_write_b8 v3, v26
	s_waitcnt vmcnt(0) lgkmcnt(1)
	v_fmac_f32_e32 v28, v13, v5
	ds_write_b32 v8, v28
	s_or_b64 exec, exec, s[0:1]
	s_mov_b64 s[0:1], -1
	s_and_saveexec_b64 s[24:25], vcc
	s_cbranch_execz .LBB1_27
.LBB1_33:                               ;   in Loop: Header=BB1_28 Depth=2
	v_add_u32_e32 v4, 64, v4
	v_cmp_ge_i32_e32 vcc, v4, v16
	s_orn2_b64 s[0:1], vcc, exec
	s_branch .LBB1_27
.LBB1_34:                               ;   in Loop: Header=BB1_15 Depth=1
	s_or_b64 exec, exec, s[22:23]
.LBB1_35:                               ;   in Loop: Header=BB1_15 Depth=1
	s_or_b64 exec, exec, s[20:21]
	s_waitcnt lgkmcnt(0)
	ds_read_u8 v3, v25
	s_waitcnt lgkmcnt(0)
	v_and_b32_e32 v5, 1, v3
	v_cmp_eq_u32_e64 s[0:1], 1, v5
	v_cmp_ne_u16_e32 vcc, 0, v3
	s_and_saveexec_b64 s[20:21], s[0:1]
	s_cbranch_execz .LBB1_14
; %bb.36:                               ;   in Loop: Header=BB1_15 Depth=1
	v_and_b32_e32 v5, vcc_lo, v0
	v_and_b32_e32 v3, vcc_hi, v1
	v_bcnt_u32_b32 v5, v5, 0
	v_bcnt_u32_b32 v3, v3, v5
	v_add3_u32 v8, v17, v3, -1
	ds_read_b32 v3, v10
	v_lshlrev_b64 v[28:29], 2, v[8:9]
	v_add_u32_e32 v5, v18, v6
	v_lshl_add_u64 v[30:31], s[16:17], 0, v[28:29]
	v_lshl_add_u64 v[28:29], s[18:19], 0, v[28:29]
	global_store_dword v[30:31], v5, off
	s_waitcnt lgkmcnt(0)
	global_store_dword v[28:29], v3, off
	s_branch .LBB1_14
.LBB1_37:
	s_endpgm
	.section	.rodata,"a",@progbits
	.p2align	6, 0x0
	.amdhsa_kernel _ZN9rocsparseL29csrgeam_fill_multipass_kernelILj256ELj64EiifEEvllNS_24const_host_device_scalarIT3_EEPKT1_PKT2_PKS2_S3_S6_S9_SB_S6_PS7_PS2_21rocsparse_index_base_SE_SE_bbb
		.amdhsa_group_segment_fixed_size 1280
		.amdhsa_private_segment_fixed_size 0
		.amdhsa_kernarg_size 120
		.amdhsa_user_sgpr_count 2
		.amdhsa_user_sgpr_dispatch_ptr 0
		.amdhsa_user_sgpr_queue_ptr 0
		.amdhsa_user_sgpr_kernarg_segment_ptr 1
		.amdhsa_user_sgpr_dispatch_id 0
		.amdhsa_user_sgpr_kernarg_preload_length 0
		.amdhsa_user_sgpr_kernarg_preload_offset 0
		.amdhsa_user_sgpr_private_segment_size 0
		.amdhsa_uses_dynamic_stack 0
		.amdhsa_enable_private_segment 0
		.amdhsa_system_sgpr_workgroup_id_x 1
		.amdhsa_system_sgpr_workgroup_id_y 0
		.amdhsa_system_sgpr_workgroup_id_z 0
		.amdhsa_system_sgpr_workgroup_info 0
		.amdhsa_system_vgpr_workitem_id 0
		.amdhsa_next_free_vgpr 32
		.amdhsa_next_free_sgpr 26
		.amdhsa_accum_offset 32
		.amdhsa_reserve_vcc 1
		.amdhsa_float_round_mode_32 0
		.amdhsa_float_round_mode_16_64 0
		.amdhsa_float_denorm_mode_32 3
		.amdhsa_float_denorm_mode_16_64 3
		.amdhsa_dx10_clamp 1
		.amdhsa_ieee_mode 1
		.amdhsa_fp16_overflow 0
		.amdhsa_tg_split 0
		.amdhsa_exception_fp_ieee_invalid_op 0
		.amdhsa_exception_fp_denorm_src 0
		.amdhsa_exception_fp_ieee_div_zero 0
		.amdhsa_exception_fp_ieee_overflow 0
		.amdhsa_exception_fp_ieee_underflow 0
		.amdhsa_exception_fp_ieee_inexact 0
		.amdhsa_exception_int_div_zero 0
	.end_amdhsa_kernel
	.section	.text._ZN9rocsparseL29csrgeam_fill_multipass_kernelILj256ELj64EiifEEvllNS_24const_host_device_scalarIT3_EEPKT1_PKT2_PKS2_S3_S6_S9_SB_S6_PS7_PS2_21rocsparse_index_base_SE_SE_bbb,"axG",@progbits,_ZN9rocsparseL29csrgeam_fill_multipass_kernelILj256ELj64EiifEEvllNS_24const_host_device_scalarIT3_EEPKT1_PKT2_PKS2_S3_S6_S9_SB_S6_PS7_PS2_21rocsparse_index_base_SE_SE_bbb,comdat
.Lfunc_end1:
	.size	_ZN9rocsparseL29csrgeam_fill_multipass_kernelILj256ELj64EiifEEvllNS_24const_host_device_scalarIT3_EEPKT1_PKT2_PKS2_S3_S6_S9_SB_S6_PS7_PS2_21rocsparse_index_base_SE_SE_bbb, .Lfunc_end1-_ZN9rocsparseL29csrgeam_fill_multipass_kernelILj256ELj64EiifEEvllNS_24const_host_device_scalarIT3_EEPKT1_PKT2_PKS2_S3_S6_S9_SB_S6_PS7_PS2_21rocsparse_index_base_SE_SE_bbb
                                        ; -- End function
	.set _ZN9rocsparseL29csrgeam_fill_multipass_kernelILj256ELj64EiifEEvllNS_24const_host_device_scalarIT3_EEPKT1_PKT2_PKS2_S3_S6_S9_SB_S6_PS7_PS2_21rocsparse_index_base_SE_SE_bbb.num_vgpr, 32
	.set _ZN9rocsparseL29csrgeam_fill_multipass_kernelILj256ELj64EiifEEvllNS_24const_host_device_scalarIT3_EEPKT1_PKT2_PKS2_S3_S6_S9_SB_S6_PS7_PS2_21rocsparse_index_base_SE_SE_bbb.num_agpr, 0
	.set _ZN9rocsparseL29csrgeam_fill_multipass_kernelILj256ELj64EiifEEvllNS_24const_host_device_scalarIT3_EEPKT1_PKT2_PKS2_S3_S6_S9_SB_S6_PS7_PS2_21rocsparse_index_base_SE_SE_bbb.numbered_sgpr, 26
	.set _ZN9rocsparseL29csrgeam_fill_multipass_kernelILj256ELj64EiifEEvllNS_24const_host_device_scalarIT3_EEPKT1_PKT2_PKS2_S3_S6_S9_SB_S6_PS7_PS2_21rocsparse_index_base_SE_SE_bbb.num_named_barrier, 0
	.set _ZN9rocsparseL29csrgeam_fill_multipass_kernelILj256ELj64EiifEEvllNS_24const_host_device_scalarIT3_EEPKT1_PKT2_PKS2_S3_S6_S9_SB_S6_PS7_PS2_21rocsparse_index_base_SE_SE_bbb.private_seg_size, 0
	.set _ZN9rocsparseL29csrgeam_fill_multipass_kernelILj256ELj64EiifEEvllNS_24const_host_device_scalarIT3_EEPKT1_PKT2_PKS2_S3_S6_S9_SB_S6_PS7_PS2_21rocsparse_index_base_SE_SE_bbb.uses_vcc, 1
	.set _ZN9rocsparseL29csrgeam_fill_multipass_kernelILj256ELj64EiifEEvllNS_24const_host_device_scalarIT3_EEPKT1_PKT2_PKS2_S3_S6_S9_SB_S6_PS7_PS2_21rocsparse_index_base_SE_SE_bbb.uses_flat_scratch, 0
	.set _ZN9rocsparseL29csrgeam_fill_multipass_kernelILj256ELj64EiifEEvllNS_24const_host_device_scalarIT3_EEPKT1_PKT2_PKS2_S3_S6_S9_SB_S6_PS7_PS2_21rocsparse_index_base_SE_SE_bbb.has_dyn_sized_stack, 0
	.set _ZN9rocsparseL29csrgeam_fill_multipass_kernelILj256ELj64EiifEEvllNS_24const_host_device_scalarIT3_EEPKT1_PKT2_PKS2_S3_S6_S9_SB_S6_PS7_PS2_21rocsparse_index_base_SE_SE_bbb.has_recursion, 0
	.set _ZN9rocsparseL29csrgeam_fill_multipass_kernelILj256ELj64EiifEEvllNS_24const_host_device_scalarIT3_EEPKT1_PKT2_PKS2_S3_S6_S9_SB_S6_PS7_PS2_21rocsparse_index_base_SE_SE_bbb.has_indirect_call, 0
	.section	.AMDGPU.csdata,"",@progbits
; Kernel info:
; codeLenInByte = 1420
; TotalNumSgprs: 32
; NumVgprs: 32
; NumAgprs: 0
; TotalNumVgprs: 32
; ScratchSize: 0
; MemoryBound: 0
; FloatMode: 240
; IeeeMode: 1
; LDSByteSize: 1280 bytes/workgroup (compile time only)
; SGPRBlocks: 3
; VGPRBlocks: 3
; NumSGPRsForWavesPerEU: 32
; NumVGPRsForWavesPerEU: 32
; AccumOffset: 32
; Occupancy: 8
; WaveLimiterHint : 1
; COMPUTE_PGM_RSRC2:SCRATCH_EN: 0
; COMPUTE_PGM_RSRC2:USER_SGPR: 2
; COMPUTE_PGM_RSRC2:TRAP_HANDLER: 0
; COMPUTE_PGM_RSRC2:TGID_X_EN: 1
; COMPUTE_PGM_RSRC2:TGID_Y_EN: 0
; COMPUTE_PGM_RSRC2:TGID_Z_EN: 0
; COMPUTE_PGM_RSRC2:TIDIG_COMP_CNT: 0
; COMPUTE_PGM_RSRC3_GFX90A:ACCUM_OFFSET: 7
; COMPUTE_PGM_RSRC3_GFX90A:TG_SPLIT: 0
	.section	.text._ZN9rocsparseL29csrgeam_fill_multipass_kernelILj256ELj32ElifEEvllNS_24const_host_device_scalarIT3_EEPKT1_PKT2_PKS2_S3_S6_S9_SB_S6_PS7_PS2_21rocsparse_index_base_SE_SE_bbb,"axG",@progbits,_ZN9rocsparseL29csrgeam_fill_multipass_kernelILj256ELj32ElifEEvllNS_24const_host_device_scalarIT3_EEPKT1_PKT2_PKS2_S3_S6_S9_SB_S6_PS7_PS2_21rocsparse_index_base_SE_SE_bbb,comdat
	.globl	_ZN9rocsparseL29csrgeam_fill_multipass_kernelILj256ELj32ElifEEvllNS_24const_host_device_scalarIT3_EEPKT1_PKT2_PKS2_S3_S6_S9_SB_S6_PS7_PS2_21rocsparse_index_base_SE_SE_bbb ; -- Begin function _ZN9rocsparseL29csrgeam_fill_multipass_kernelILj256ELj32ElifEEvllNS_24const_host_device_scalarIT3_EEPKT1_PKT2_PKS2_S3_S6_S9_SB_S6_PS7_PS2_21rocsparse_index_base_SE_SE_bbb
	.p2align	8
	.type	_ZN9rocsparseL29csrgeam_fill_multipass_kernelILj256ELj32ElifEEvllNS_24const_host_device_scalarIT3_EEPKT1_PKT2_PKS2_S3_S6_S9_SB_S6_PS7_PS2_21rocsparse_index_base_SE_SE_bbb,@function
_ZN9rocsparseL29csrgeam_fill_multipass_kernelILj256ELj32ElifEEvllNS_24const_host_device_scalarIT3_EEPKT1_PKT2_PKS2_S3_S6_S9_SB_S6_PS7_PS2_21rocsparse_index_base_SE_SE_bbb: ; @_ZN9rocsparseL29csrgeam_fill_multipass_kernelILj256ELj32ElifEEvllNS_24const_host_device_scalarIT3_EEPKT1_PKT2_PKS2_S3_S6_S9_SB_S6_PS7_PS2_21rocsparse_index_base_SE_SE_bbb
; %bb.0:
	s_load_dwordx4 s[8:11], s[0:1], 0x68
	s_load_dwordx2 s[6:7], s[0:1], 0x30
	s_load_dword s3, s[0:1], 0x74
	s_load_dwordx4 s[12:15], s[0:1], 0x0
	s_load_dwordx2 s[18:19], s[0:1], 0x10
	s_waitcnt lgkmcnt(0)
	s_bitcmp1_b32 s11, 0
	s_cselect_b64 s[4:5], -1, 0
	s_bitcmp1_b32 s3, 16
	s_cselect_b64 s[16:17], -1, 0
	s_xor_b64 s[20:21], s[4:5], -1
	s_or_b64 s[20:21], s[16:17], s[20:21]
	s_and_b64 vcc, exec, s[20:21]
	s_cbranch_vccnz .LBB2_2
; %bb.1:
	s_load_dword s4, s[18:19], 0x0
	s_waitcnt lgkmcnt(0)
	v_mov_b32_e32 v18, s4
	s_branch .LBB2_3
.LBB2_2:
	v_mov_b32_e32 v1, s18
	v_cndmask_b32_e64 v18, 0, v1, s[4:5]
.LBB2_3:
	s_bitcmp1_b32 s3, 8
	s_cselect_b64 s[4:5], -1, 0
	s_xor_b64 s[18:19], s[4:5], -1
	s_or_b64 s[16:17], s[16:17], s[18:19]
	s_and_b64 vcc, exec, s[16:17]
	s_cbranch_vccnz .LBB2_5
; %bb.4:
	s_load_dword s3, s[6:7], 0x0
	s_waitcnt lgkmcnt(0)
	v_mov_b32_e32 v19, s3
	s_branch .LBB2_6
.LBB2_5:
	v_mov_b32_e32 v1, s6
	v_cndmask_b32_e64 v19, 0, v1, s[4:5]
.LBB2_6:
	s_lshl_b32 s2, s2, 3
	v_lshrrev_b32_e32 v1, 5, v0
	s_and_b32 s2, s2, 0x7fffff8
	v_or_b32_e32 v2, s2, v1
	v_mov_b32_e32 v3, 0
	v_cmp_gt_i64_e32 vcc, s[12:13], v[2:3]
	s_and_saveexec_b64 s[2:3], vcc
	s_cbranch_execz .LBB2_37
; %bb.7:
	s_load_dwordx2 s[2:3], s[0:1], 0x18
	s_load_dwordx2 s[4:5], s[0:1], 0x50
	s_load_dwordx2 s[6:7], s[0:1], 0x38
	v_lshlrev_b32_e32 v1, 3, v2
	s_waitcnt lgkmcnt(0)
	global_load_dwordx4 v[2:5], v1, s[2:3]
	global_load_dwordx4 v[6:9], v1, s[6:7]
	global_load_dwordx2 v[12:13], v1, s[4:5]
	s_waitcnt vmcnt(2)
	v_subrev_co_u32_e32 v10, vcc, s8, v2
	s_nop 1
	v_subbrev_co_u32_e32 v11, vcc, 0, v3, vcc
	v_cmp_ge_i64_e32 vcc, v[2:3], v[4:5]
	s_and_saveexec_b64 s[2:3], vcc
	s_xor_b64 s[2:3], exec, s[2:3]
	s_or_saveexec_b64 s[4:5], s[2:3]
	s_load_dwordx2 s[2:3], s[0:1], 0x20
	v_mov_b32_e32 v1, s14
	s_xor_b64 exec, exec, s[4:5]
	s_cbranch_execz .LBB2_9
; %bb.8:
	s_waitcnt lgkmcnt(0)
	v_lshl_add_u64 v[2:3], v[10:11], 2, s[2:3]
	global_load_dword v1, v[2:3], off
	s_waitcnt vmcnt(0)
	v_subrev_u32_e32 v1, s8, v1
.LBB2_9:
	s_or_b64 exec, exec, s[4:5]
	s_waitcnt vmcnt(1)
	v_subrev_co_u32_e32 v16, vcc, s9, v6
	s_mov_b32 s11, s9
	s_nop 0
	v_subbrev_co_u32_e32 v17, vcc, 0, v7, vcc
	v_cmp_ge_i64_e32 vcc, v[6:7], v[8:9]
	v_mov_b32_e32 v33, s14
	s_and_saveexec_b64 s[4:5], vcc
	s_xor_b64 s[4:5], exec, s[4:5]
; %bb.10:
	v_mov_b32_e32 v33, s14
; %bb.11:
	s_or_saveexec_b64 s[4:5], s[4:5]
	s_load_dwordx2 s[12:13], s[0:1], 0x40
	v_mov_b32_e32 v14, v33
	s_xor_b64 exec, exec, s[4:5]
	s_cbranch_execz .LBB2_13
; %bb.12:
	s_waitcnt lgkmcnt(0)
	v_lshl_add_u64 v[2:3], v[16:17], 2, s[12:13]
	global_load_dword v2, v[2:3], off
	s_waitcnt vmcnt(0)
	v_subrev_u32_e32 v14, s9, v2
.LBB2_13:
	s_or_b64 exec, exec, s[4:5]
	v_and_b32_e32 v2, 0xe0, v0
	v_or_b32_e32 v20, 0x400, v2
	v_lshlrev_b32_e32 v21, 2, v2
	v_subrev_co_u32_e32 v2, vcc, s8, v4
	v_min_i32_e32 v14, v14, v1
	s_nop 0
	v_subbrev_co_u32_e32 v3, vcc, 0, v5, vcc
	v_subrev_co_u32_e32 v4, vcc, s11, v8
	v_mbcnt_lo_u32_b32 v1, -1, 0
	s_nop 0
	v_subbrev_co_u32_e32 v5, vcc, 0, v9, vcc
	v_mbcnt_hi_u32_b32 v1, -1, v1
	s_waitcnt vmcnt(0)
	v_subrev_co_u32_e32 v6, vcc, s10, v12
	v_and_b32_e32 v8, 31, v0
	v_and_b32_e32 v15, 64, v1
	v_bitop3_b32 v0, v0, 31, v0 bitop3:0xc
	v_subbrev_co_u32_e32 v7, vcc, 0, v13, vcc
	v_add_u32_e32 v15, 64, v15
	v_lshrrev_b32_e64 v23, v0, -1
	v_xor_b32_e32 v0, 16, v1
	v_cmp_lt_i32_e32 vcc, v0, v15
	s_load_dwordx4 s[4:7], s[0:1], 0x58
	s_load_dwordx2 s[16:17], s[0:1], 0x48
	s_load_dwordx2 s[18:19], s[0:1], 0x28
	v_cndmask_b32_e32 v0, v1, v0, vcc
	v_lshlrev_b32_e32 v25, 2, v0
	v_xor_b32_e32 v0, 8, v1
	v_cmp_lt_i32_e32 vcc, v0, v15
	v_mov_b32_e32 v9, 0
	s_mov_b32 s11, 0
	v_cndmask_b32_e32 v0, v1, v0, vcc
	v_lshlrev_b32_e32 v26, 2, v0
	v_xor_b32_e32 v0, 4, v1
	v_cmp_lt_i32_e32 vcc, v0, v15
	v_lshl_add_u64 v[10:11], v[10:11], 0, v[8:9]
	v_lshl_add_u64 v[12:13], v[16:17], 0, v[8:9]
	v_cndmask_b32_e32 v0, v1, v0, vcc
	v_lshlrev_b32_e32 v27, 2, v0
	v_xor_b32_e32 v0, 2, v1
	v_cmp_lt_i32_e32 vcc, v0, v15
	v_lshl_or_b32 v22, v8, 2, v21
	v_add_u32_e32 v24, s10, v8
	v_cndmask_b32_e32 v0, v1, v0, vcc
	v_lshlrev_b32_e32 v28, 2, v0
	v_xor_b32_e32 v0, 1, v1
	v_cmp_lt_i32_e32 vcc, v0, v15
	s_mov_b64 s[20:21], 0
	v_add_u32_e32 v30, v20, v8
	v_cndmask_b32_e32 v0, v1, v0, vcc
	v_lshlrev_b32_e32 v29, 2, v0
	v_mov_b32_e32 v31, 1
	s_mov_b64 s[22:23], 0x80
	s_branch .LBB2_15
.LBB2_14:                               ;   in Loop: Header=BB2_15 Depth=1
	s_or_b64 exec, exec, s[24:25]
	ds_bpermute_b32 v0, v25, v15
	s_bcnt1_i32_b64 s10, vcc
	v_lshl_add_u64 v[6:7], s[10:11], 0, v[6:7]
	s_waitcnt lgkmcnt(0)
	v_min_i32_e32 v0, v0, v15
	ds_bpermute_b32 v1, v26, v0
	s_waitcnt lgkmcnt(0)
	v_min_i32_e32 v0, v1, v0
	ds_bpermute_b32 v1, v27, v0
	;; [unrolled: 3-line block ×4, first 2 shown]
	s_waitcnt lgkmcnt(0)
	v_min_i32_e32 v14, v1, v0
	v_ashrrev_i32_e32 v15, 31, v14
	v_cmp_le_i64_e32 vcc, s[14:15], v[14:15]
	s_or_b64 s[20:21], vcc, s[20:21]
	s_andn2_b64 exec, exec, s[20:21]
	s_cbranch_execz .LBB2_37
.LBB2_15:                               ; =>This Loop Header: Depth=1
                                        ;     Child Loop BB2_18 Depth 2
                                        ;     Child Loop BB2_28 Depth 2
	v_cmp_lt_i64_e32 vcc, v[10:11], v[2:3]
	v_mov_b32_e32 v15, v33
	ds_write_b8 v30, v9
	ds_write_b32 v22, v9
	s_waitcnt lgkmcnt(0)
	s_and_saveexec_b64 s[24:25], vcc
	s_cbranch_execz .LBB2_25
; %bb.16:                               ;   in Loop: Header=BB2_15 Depth=1
	v_lshlrev_b64 v[16:17], 2, v[10:11]
	v_lshl_add_u64 v[0:1], s[2:3], 0, v[16:17]
	v_lshl_add_u64 v[16:17], s[18:19], 0, v[16:17]
	s_mov_b64 s[26:27], 0
	v_mov_b32_e32 v15, v33
	s_branch .LBB2_18
.LBB2_17:                               ;   in Loop: Header=BB2_18 Depth=2
	s_or_b64 exec, exec, s[28:29]
	s_and_b64 s[0:1], exec, s[0:1]
	s_or_b64 s[26:27], s[0:1], s[26:27]
	s_andn2_b64 exec, exec, s[26:27]
	s_cbranch_execz .LBB2_24
.LBB2_18:                               ;   Parent Loop BB2_15 Depth=1
                                        ; =>  This Inner Loop Header: Depth=2
	global_load_dword v8, v[0:1], off
	s_waitcnt vmcnt(0)
	v_subrev_u32_e32 v32, s8, v8
	v_sub_u32_e32 v8, v32, v14
	v_cmp_gt_u32_e32 vcc, 32, v8
	v_cmp_lt_u32_e64 s[0:1], 31, v8
	s_and_saveexec_b64 s[28:29], s[0:1]
	s_xor_b64 s[0:1], exec, s[28:29]
	s_cbranch_execnz .LBB2_21
; %bb.19:                               ;   in Loop: Header=BB2_18 Depth=2
	s_andn2_saveexec_b64 s[0:1], s[0:1]
	s_cbranch_execnz .LBB2_22
.LBB2_20:                               ;   in Loop: Header=BB2_18 Depth=2
	s_or_b64 exec, exec, s[0:1]
	s_mov_b64 s[0:1], -1
	s_and_saveexec_b64 s[28:29], vcc
	s_cbranch_execz .LBB2_17
	s_branch .LBB2_23
.LBB2_21:                               ;   in Loop: Header=BB2_18 Depth=2
	v_min_i32_e32 v15, v32, v15
                                        ; implicit-def: $vgpr8
	s_andn2_saveexec_b64 s[0:1], s[0:1]
	s_cbranch_execz .LBB2_20
.LBB2_22:                               ;   in Loop: Header=BB2_18 Depth=2
	global_load_dword v32, v[16:17], off
	v_add_u32_e32 v34, v20, v8
	v_lshl_add_u32 v8, v8, 2, v21
	ds_write_b8 v34, v31
	s_waitcnt vmcnt(0)
	v_mul_f32_e32 v32, v18, v32
	ds_write_b32 v8, v32
	s_or_b64 exec, exec, s[0:1]
	s_mov_b64 s[0:1], -1
	s_and_saveexec_b64 s[28:29], vcc
	s_cbranch_execz .LBB2_17
.LBB2_23:                               ;   in Loop: Header=BB2_18 Depth=2
	v_lshl_add_u64 v[10:11], v[10:11], 0, 32
	v_cmp_ge_i64_e32 vcc, v[10:11], v[2:3]
	v_lshl_add_u64 v[0:1], v[0:1], 0, s[22:23]
	v_lshl_add_u64 v[16:17], v[16:17], 0, s[22:23]
	s_orn2_b64 s[0:1], vcc, exec
	s_branch .LBB2_17
.LBB2_24:                               ;   in Loop: Header=BB2_15 Depth=1
	s_or_b64 exec, exec, s[26:27]
.LBB2_25:                               ;   in Loop: Header=BB2_15 Depth=1
	s_or_b64 exec, exec, s[24:25]
	v_cmp_lt_i64_e32 vcc, v[12:13], v[4:5]
	s_waitcnt lgkmcnt(0)
	s_and_saveexec_b64 s[24:25], vcc
	s_cbranch_execz .LBB2_35
; %bb.26:                               ;   in Loop: Header=BB2_15 Depth=1
	v_lshlrev_b64 v[16:17], 2, v[12:13]
	v_lshl_add_u64 v[0:1], s[12:13], 0, v[16:17]
	v_lshl_add_u64 v[16:17], s[16:17], 0, v[16:17]
	s_mov_b64 s[26:27], 0
	s_branch .LBB2_28
.LBB2_27:                               ;   in Loop: Header=BB2_28 Depth=2
	s_or_b64 exec, exec, s[28:29]
	s_and_b64 s[0:1], exec, s[0:1]
	s_or_b64 s[26:27], s[0:1], s[26:27]
	s_andn2_b64 exec, exec, s[26:27]
	s_cbranch_execz .LBB2_34
.LBB2_28:                               ;   Parent Loop BB2_15 Depth=1
                                        ; =>  This Inner Loop Header: Depth=2
	global_load_dword v8, v[0:1], off
	s_waitcnt vmcnt(0)
	v_subrev_u32_e32 v32, s9, v8
	v_sub_u32_e32 v8, v32, v14
	v_cmp_gt_u32_e32 vcc, 32, v8
	v_cmp_lt_u32_e64 s[0:1], 31, v8
	s_and_saveexec_b64 s[28:29], s[0:1]
	s_xor_b64 s[0:1], exec, s[28:29]
	s_cbranch_execnz .LBB2_31
; %bb.29:                               ;   in Loop: Header=BB2_28 Depth=2
	s_andn2_saveexec_b64 s[0:1], s[0:1]
	s_cbranch_execnz .LBB2_32
.LBB2_30:                               ;   in Loop: Header=BB2_28 Depth=2
	s_or_b64 exec, exec, s[0:1]
	s_mov_b64 s[0:1], -1
	s_and_saveexec_b64 s[28:29], vcc
	s_cbranch_execz .LBB2_27
	s_branch .LBB2_33
.LBB2_31:                               ;   in Loop: Header=BB2_28 Depth=2
	v_min_i32_e32 v15, v32, v15
                                        ; implicit-def: $vgpr8
	s_andn2_saveexec_b64 s[0:1], s[0:1]
	s_cbranch_execz .LBB2_30
.LBB2_32:                               ;   in Loop: Header=BB2_28 Depth=2
	global_load_dword v32, v[16:17], off
	v_lshl_add_u32 v34, v8, 2, v21
	ds_read_b32 v35, v34
	v_add_u32_e32 v8, v20, v8
	ds_write_b8 v8, v31
	s_waitcnt vmcnt(0) lgkmcnt(1)
	v_fmac_f32_e32 v35, v19, v32
	ds_write_b32 v34, v35
	s_or_b64 exec, exec, s[0:1]
	s_mov_b64 s[0:1], -1
	s_and_saveexec_b64 s[28:29], vcc
	s_cbranch_execz .LBB2_27
.LBB2_33:                               ;   in Loop: Header=BB2_28 Depth=2
	v_lshl_add_u64 v[12:13], v[12:13], 0, 32
	v_cmp_ge_i64_e32 vcc, v[12:13], v[4:5]
	v_lshl_add_u64 v[0:1], v[0:1], 0, s[22:23]
	v_lshl_add_u64 v[16:17], v[16:17], 0, s[22:23]
	s_orn2_b64 s[0:1], vcc, exec
	s_branch .LBB2_27
.LBB2_34:                               ;   in Loop: Header=BB2_15 Depth=1
	s_or_b64 exec, exec, s[26:27]
.LBB2_35:                               ;   in Loop: Header=BB2_15 Depth=1
	s_or_b64 exec, exec, s[24:25]
	s_waitcnt lgkmcnt(0)
	ds_read_u8 v0, v30
	s_waitcnt lgkmcnt(0)
	v_and_b32_e32 v1, 1, v0
	v_cmp_eq_u32_e64 s[0:1], 1, v1
	v_cmp_ne_u16_e32 vcc, 0, v0
	s_and_saveexec_b64 s[24:25], s[0:1]
	s_cbranch_execz .LBB2_14
; %bb.36:                               ;   in Loop: Header=BB2_15 Depth=1
	v_and_b32_e32 v0, vcc_lo, v23
	v_bcnt_u32_b32 v8, v0, 0
	v_lshl_add_u64 v[0:1], v[6:7], 0, v[8:9]
	ds_read_b32 v8, v22
	v_lshlrev_b64 v[0:1], 2, v[0:1]
	v_add_u32_e32 v14, v24, v14
	v_lshl_add_u64 v[16:17], s[4:5], 0, v[0:1]
	v_lshl_add_u64 v[0:1], s[6:7], 0, v[0:1]
	global_store_dword v[16:17], v14, off offset:-4
	s_waitcnt lgkmcnt(0)
	global_store_dword v[0:1], v8, off offset:-4
	s_branch .LBB2_14
.LBB2_37:
	s_endpgm
	.section	.rodata,"a",@progbits
	.p2align	6, 0x0
	.amdhsa_kernel _ZN9rocsparseL29csrgeam_fill_multipass_kernelILj256ELj32ElifEEvllNS_24const_host_device_scalarIT3_EEPKT1_PKT2_PKS2_S3_S6_S9_SB_S6_PS7_PS2_21rocsparse_index_base_SE_SE_bbb
		.amdhsa_group_segment_fixed_size 1280
		.amdhsa_private_segment_fixed_size 0
		.amdhsa_kernarg_size 120
		.amdhsa_user_sgpr_count 2
		.amdhsa_user_sgpr_dispatch_ptr 0
		.amdhsa_user_sgpr_queue_ptr 0
		.amdhsa_user_sgpr_kernarg_segment_ptr 1
		.amdhsa_user_sgpr_dispatch_id 0
		.amdhsa_user_sgpr_kernarg_preload_length 0
		.amdhsa_user_sgpr_kernarg_preload_offset 0
		.amdhsa_user_sgpr_private_segment_size 0
		.amdhsa_uses_dynamic_stack 0
		.amdhsa_enable_private_segment 0
		.amdhsa_system_sgpr_workgroup_id_x 1
		.amdhsa_system_sgpr_workgroup_id_y 0
		.amdhsa_system_sgpr_workgroup_id_z 0
		.amdhsa_system_sgpr_workgroup_info 0
		.amdhsa_system_vgpr_workitem_id 0
		.amdhsa_next_free_vgpr 36
		.amdhsa_next_free_sgpr 30
		.amdhsa_accum_offset 36
		.amdhsa_reserve_vcc 1
		.amdhsa_float_round_mode_32 0
		.amdhsa_float_round_mode_16_64 0
		.amdhsa_float_denorm_mode_32 3
		.amdhsa_float_denorm_mode_16_64 3
		.amdhsa_dx10_clamp 1
		.amdhsa_ieee_mode 1
		.amdhsa_fp16_overflow 0
		.amdhsa_tg_split 0
		.amdhsa_exception_fp_ieee_invalid_op 0
		.amdhsa_exception_fp_denorm_src 0
		.amdhsa_exception_fp_ieee_div_zero 0
		.amdhsa_exception_fp_ieee_overflow 0
		.amdhsa_exception_fp_ieee_underflow 0
		.amdhsa_exception_fp_ieee_inexact 0
		.amdhsa_exception_int_div_zero 0
	.end_amdhsa_kernel
	.section	.text._ZN9rocsparseL29csrgeam_fill_multipass_kernelILj256ELj32ElifEEvllNS_24const_host_device_scalarIT3_EEPKT1_PKT2_PKS2_S3_S6_S9_SB_S6_PS7_PS2_21rocsparse_index_base_SE_SE_bbb,"axG",@progbits,_ZN9rocsparseL29csrgeam_fill_multipass_kernelILj256ELj32ElifEEvllNS_24const_host_device_scalarIT3_EEPKT1_PKT2_PKS2_S3_S6_S9_SB_S6_PS7_PS2_21rocsparse_index_base_SE_SE_bbb,comdat
.Lfunc_end2:
	.size	_ZN9rocsparseL29csrgeam_fill_multipass_kernelILj256ELj32ElifEEvllNS_24const_host_device_scalarIT3_EEPKT1_PKT2_PKS2_S3_S6_S9_SB_S6_PS7_PS2_21rocsparse_index_base_SE_SE_bbb, .Lfunc_end2-_ZN9rocsparseL29csrgeam_fill_multipass_kernelILj256ELj32ElifEEvllNS_24const_host_device_scalarIT3_EEPKT1_PKT2_PKS2_S3_S6_S9_SB_S6_PS7_PS2_21rocsparse_index_base_SE_SE_bbb
                                        ; -- End function
	.set _ZN9rocsparseL29csrgeam_fill_multipass_kernelILj256ELj32ElifEEvllNS_24const_host_device_scalarIT3_EEPKT1_PKT2_PKS2_S3_S6_S9_SB_S6_PS7_PS2_21rocsparse_index_base_SE_SE_bbb.num_vgpr, 36
	.set _ZN9rocsparseL29csrgeam_fill_multipass_kernelILj256ELj32ElifEEvllNS_24const_host_device_scalarIT3_EEPKT1_PKT2_PKS2_S3_S6_S9_SB_S6_PS7_PS2_21rocsparse_index_base_SE_SE_bbb.num_agpr, 0
	.set _ZN9rocsparseL29csrgeam_fill_multipass_kernelILj256ELj32ElifEEvllNS_24const_host_device_scalarIT3_EEPKT1_PKT2_PKS2_S3_S6_S9_SB_S6_PS7_PS2_21rocsparse_index_base_SE_SE_bbb.numbered_sgpr, 30
	.set _ZN9rocsparseL29csrgeam_fill_multipass_kernelILj256ELj32ElifEEvllNS_24const_host_device_scalarIT3_EEPKT1_PKT2_PKS2_S3_S6_S9_SB_S6_PS7_PS2_21rocsparse_index_base_SE_SE_bbb.num_named_barrier, 0
	.set _ZN9rocsparseL29csrgeam_fill_multipass_kernelILj256ELj32ElifEEvllNS_24const_host_device_scalarIT3_EEPKT1_PKT2_PKS2_S3_S6_S9_SB_S6_PS7_PS2_21rocsparse_index_base_SE_SE_bbb.private_seg_size, 0
	.set _ZN9rocsparseL29csrgeam_fill_multipass_kernelILj256ELj32ElifEEvllNS_24const_host_device_scalarIT3_EEPKT1_PKT2_PKS2_S3_S6_S9_SB_S6_PS7_PS2_21rocsparse_index_base_SE_SE_bbb.uses_vcc, 1
	.set _ZN9rocsparseL29csrgeam_fill_multipass_kernelILj256ELj32ElifEEvllNS_24const_host_device_scalarIT3_EEPKT1_PKT2_PKS2_S3_S6_S9_SB_S6_PS7_PS2_21rocsparse_index_base_SE_SE_bbb.uses_flat_scratch, 0
	.set _ZN9rocsparseL29csrgeam_fill_multipass_kernelILj256ELj32ElifEEvllNS_24const_host_device_scalarIT3_EEPKT1_PKT2_PKS2_S3_S6_S9_SB_S6_PS7_PS2_21rocsparse_index_base_SE_SE_bbb.has_dyn_sized_stack, 0
	.set _ZN9rocsparseL29csrgeam_fill_multipass_kernelILj256ELj32ElifEEvllNS_24const_host_device_scalarIT3_EEPKT1_PKT2_PKS2_S3_S6_S9_SB_S6_PS7_PS2_21rocsparse_index_base_SE_SE_bbb.has_recursion, 0
	.set _ZN9rocsparseL29csrgeam_fill_multipass_kernelILj256ELj32ElifEEvllNS_24const_host_device_scalarIT3_EEPKT1_PKT2_PKS2_S3_S6_S9_SB_S6_PS7_PS2_21rocsparse_index_base_SE_SE_bbb.has_indirect_call, 0
	.section	.AMDGPU.csdata,"",@progbits
; Kernel info:
; codeLenInByte = 1488
; TotalNumSgprs: 36
; NumVgprs: 36
; NumAgprs: 0
; TotalNumVgprs: 36
; ScratchSize: 0
; MemoryBound: 0
; FloatMode: 240
; IeeeMode: 1
; LDSByteSize: 1280 bytes/workgroup (compile time only)
; SGPRBlocks: 4
; VGPRBlocks: 4
; NumSGPRsForWavesPerEU: 36
; NumVGPRsForWavesPerEU: 36
; AccumOffset: 36
; Occupancy: 8
; WaveLimiterHint : 1
; COMPUTE_PGM_RSRC2:SCRATCH_EN: 0
; COMPUTE_PGM_RSRC2:USER_SGPR: 2
; COMPUTE_PGM_RSRC2:TRAP_HANDLER: 0
; COMPUTE_PGM_RSRC2:TGID_X_EN: 1
; COMPUTE_PGM_RSRC2:TGID_Y_EN: 0
; COMPUTE_PGM_RSRC2:TGID_Z_EN: 0
; COMPUTE_PGM_RSRC2:TIDIG_COMP_CNT: 0
; COMPUTE_PGM_RSRC3_GFX90A:ACCUM_OFFSET: 8
; COMPUTE_PGM_RSRC3_GFX90A:TG_SPLIT: 0
	.section	.text._ZN9rocsparseL29csrgeam_fill_multipass_kernelILj256ELj64ElifEEvllNS_24const_host_device_scalarIT3_EEPKT1_PKT2_PKS2_S3_S6_S9_SB_S6_PS7_PS2_21rocsparse_index_base_SE_SE_bbb,"axG",@progbits,_ZN9rocsparseL29csrgeam_fill_multipass_kernelILj256ELj64ElifEEvllNS_24const_host_device_scalarIT3_EEPKT1_PKT2_PKS2_S3_S6_S9_SB_S6_PS7_PS2_21rocsparse_index_base_SE_SE_bbb,comdat
	.globl	_ZN9rocsparseL29csrgeam_fill_multipass_kernelILj256ELj64ElifEEvllNS_24const_host_device_scalarIT3_EEPKT1_PKT2_PKS2_S3_S6_S9_SB_S6_PS7_PS2_21rocsparse_index_base_SE_SE_bbb ; -- Begin function _ZN9rocsparseL29csrgeam_fill_multipass_kernelILj256ELj64ElifEEvllNS_24const_host_device_scalarIT3_EEPKT1_PKT2_PKS2_S3_S6_S9_SB_S6_PS7_PS2_21rocsparse_index_base_SE_SE_bbb
	.p2align	8
	.type	_ZN9rocsparseL29csrgeam_fill_multipass_kernelILj256ELj64ElifEEvllNS_24const_host_device_scalarIT3_EEPKT1_PKT2_PKS2_S3_S6_S9_SB_S6_PS7_PS2_21rocsparse_index_base_SE_SE_bbb,@function
_ZN9rocsparseL29csrgeam_fill_multipass_kernelILj256ELj64ElifEEvllNS_24const_host_device_scalarIT3_EEPKT1_PKT2_PKS2_S3_S6_S9_SB_S6_PS7_PS2_21rocsparse_index_base_SE_SE_bbb: ; @_ZN9rocsparseL29csrgeam_fill_multipass_kernelILj256ELj64ElifEEvllNS_24const_host_device_scalarIT3_EEPKT1_PKT2_PKS2_S3_S6_S9_SB_S6_PS7_PS2_21rocsparse_index_base_SE_SE_bbb
; %bb.0:
	s_load_dwordx4 s[8:11], s[0:1], 0x68
	s_load_dwordx2 s[6:7], s[0:1], 0x30
	s_load_dword s3, s[0:1], 0x74
	s_load_dwordx4 s[12:15], s[0:1], 0x0
	s_load_dwordx2 s[18:19], s[0:1], 0x10
	s_waitcnt lgkmcnt(0)
	s_bitcmp1_b32 s11, 0
	s_cselect_b64 s[4:5], -1, 0
	s_bitcmp1_b32 s3, 16
	s_cselect_b64 s[16:17], -1, 0
	s_xor_b64 s[20:21], s[4:5], -1
	s_or_b64 s[20:21], s[16:17], s[20:21]
	s_and_b64 vcc, exec, s[20:21]
	s_cbranch_vccnz .LBB3_2
; %bb.1:
	s_load_dword s4, s[18:19], 0x0
	s_waitcnt lgkmcnt(0)
	v_mov_b32_e32 v20, s4
	s_branch .LBB3_3
.LBB3_2:
	v_mov_b32_e32 v1, s18
	v_cndmask_b32_e64 v20, 0, v1, s[4:5]
.LBB3_3:
	s_bitcmp1_b32 s3, 8
	s_cselect_b64 s[4:5], -1, 0
	s_xor_b64 s[18:19], s[4:5], -1
	s_or_b64 s[16:17], s[16:17], s[18:19]
	s_and_b64 vcc, exec, s[16:17]
	s_cbranch_vccnz .LBB3_5
; %bb.4:
	s_load_dword s3, s[6:7], 0x0
	s_waitcnt lgkmcnt(0)
	v_mov_b32_e32 v21, s3
	s_branch .LBB3_6
.LBB3_5:
	v_mov_b32_e32 v1, s6
	v_cndmask_b32_e64 v21, 0, v1, s[4:5]
.LBB3_6:
	s_lshl_b32 s2, s2, 2
	v_lshrrev_b32_e32 v1, 6, v0
	s_and_b32 s2, s2, 0x3fffffc
	v_or_b32_e32 v2, s2, v1
	v_mov_b32_e32 v3, 0
	v_cmp_gt_i64_e32 vcc, s[12:13], v[2:3]
	s_and_saveexec_b64 s[2:3], vcc
	s_cbranch_execz .LBB3_37
; %bb.7:
	s_load_dwordx2 s[2:3], s[0:1], 0x18
	s_load_dwordx2 s[4:5], s[0:1], 0x50
	;; [unrolled: 1-line block ×3, first 2 shown]
	v_lshlrev_b32_e32 v1, 3, v2
	s_waitcnt lgkmcnt(0)
	global_load_dwordx4 v[2:5], v1, s[2:3]
	global_load_dwordx4 v[6:9], v1, s[6:7]
	global_load_dwordx2 v[12:13], v1, s[4:5]
	s_waitcnt vmcnt(2)
	v_subrev_co_u32_e32 v10, vcc, s8, v2
	s_nop 1
	v_subbrev_co_u32_e32 v11, vcc, 0, v3, vcc
	v_cmp_ge_i64_e32 vcc, v[2:3], v[4:5]
	s_and_saveexec_b64 s[2:3], vcc
	s_xor_b64 s[2:3], exec, s[2:3]
	s_or_saveexec_b64 s[4:5], s[2:3]
	s_load_dwordx2 s[2:3], s[0:1], 0x20
	v_mov_b32_e32 v1, s14
	s_xor_b64 exec, exec, s[4:5]
	s_cbranch_execz .LBB3_9
; %bb.8:
	s_waitcnt lgkmcnt(0)
	v_lshl_add_u64 v[2:3], v[10:11], 2, s[2:3]
	global_load_dword v1, v[2:3], off
	s_waitcnt vmcnt(0)
	v_subrev_u32_e32 v1, s8, v1
.LBB3_9:
	s_or_b64 exec, exec, s[4:5]
	s_waitcnt vmcnt(1)
	v_subrev_co_u32_e32 v16, vcc, s9, v6
	s_mov_b32 s11, s9
	s_nop 0
	v_subbrev_co_u32_e32 v17, vcc, 0, v7, vcc
	v_cmp_ge_i64_e32 vcc, v[6:7], v[8:9]
	v_mov_b32_e32 v35, s14
	s_and_saveexec_b64 s[4:5], vcc
	s_xor_b64 s[4:5], exec, s[4:5]
; %bb.10:
	v_mov_b32_e32 v35, s14
; %bb.11:
	s_or_saveexec_b64 s[4:5], s[4:5]
	s_load_dwordx2 s[12:13], s[0:1], 0x40
	v_mov_b32_e32 v14, v35
	s_xor_b64 exec, exec, s[4:5]
	s_cbranch_execz .LBB3_13
; %bb.12:
	s_waitcnt lgkmcnt(0)
	v_lshl_add_u64 v[2:3], v[16:17], 2, s[12:13]
	global_load_dword v2, v[2:3], off
	s_waitcnt vmcnt(0)
	v_subrev_u32_e32 v14, s9, v2
.LBB3_13:
	s_or_b64 exec, exec, s[4:5]
	v_and_b32_e32 v2, 0xc0, v0
	v_or_b32_e32 v22, 0x400, v2
	v_lshlrev_b32_e32 v23, 2, v2
	v_subrev_co_u32_e32 v2, vcc, s8, v4
	v_min_i32_e32 v14, v14, v1
	s_nop 0
	v_subbrev_co_u32_e32 v3, vcc, 0, v5, vcc
	v_subrev_co_u32_e32 v4, vcc, s11, v8
	v_mbcnt_lo_u32_b32 v1, -1, 0
	s_nop 0
	v_subbrev_co_u32_e32 v5, vcc, 0, v9, vcc
	v_mbcnt_hi_u32_b32 v15, -1, v1
	s_waitcnt vmcnt(0)
	v_subrev_co_u32_e32 v6, vcc, s10, v12
	v_and_b32_e32 v8, 63, v0
	v_mov_b32_e32 v9, 0
	v_and_b32_e32 v1, 64, v15
	v_subbrev_co_u32_e32 v7, vcc, 0, v13, vcc
	v_lshl_add_u64 v[12:13], v[16:17], 0, v[8:9]
	v_add_u32_e32 v16, 64, v1
	v_xor_b32_e32 v17, 32, v15
	v_cmp_lt_i32_e32 vcc, v17, v16
	s_load_dwordx4 s[4:7], s[0:1], 0x58
	s_load_dwordx2 s[16:17], s[0:1], 0x48
	s_load_dwordx2 s[18:19], s[0:1], 0x28
	v_cndmask_b32_e32 v17, v15, v17, vcc
	v_lshlrev_b32_e32 v26, 2, v17
	v_xor_b32_e32 v17, 16, v15
	v_cmp_lt_i32_e32 vcc, v17, v16
	v_bitop3_b32 v0, v0, 63, v0 bitop3:0xc
	s_mov_b32 s11, 0
	v_cndmask_b32_e32 v17, v15, v17, vcc
	v_lshlrev_b32_e32 v27, 2, v17
	v_xor_b32_e32 v17, 8, v15
	v_cmp_lt_i32_e32 vcc, v17, v16
	v_lshl_add_u64 v[10:11], v[10:11], 0, v[8:9]
	v_lshl_or_b32 v24, v8, 2, v23
	v_cndmask_b32_e32 v17, v15, v17, vcc
	v_lshlrev_b32_e32 v28, 2, v17
	v_xor_b32_e32 v17, 4, v15
	v_cmp_lt_i32_e32 vcc, v17, v16
	v_lshrrev_b64 v[0:1], v0, -1
	v_add_u32_e32 v25, s10, v8
	v_cndmask_b32_e32 v17, v15, v17, vcc
	v_lshlrev_b32_e32 v29, 2, v17
	v_xor_b32_e32 v17, 2, v15
	v_cmp_lt_i32_e32 vcc, v17, v16
	s_mov_b64 s[20:21], 0
	v_add_u32_e32 v32, v22, v8
	v_cndmask_b32_e32 v17, v15, v17, vcc
	v_lshlrev_b32_e32 v30, 2, v17
	v_xor_b32_e32 v17, 1, v15
	v_cmp_lt_i32_e32 vcc, v17, v16
	v_mov_b32_e32 v33, 1
	s_mov_b64 s[22:23], 0x100
	v_cndmask_b32_e32 v15, v15, v17, vcc
	v_lshlrev_b32_e32 v31, 2, v15
	s_branch .LBB3_15
.LBB3_14:                               ;   in Loop: Header=BB3_15 Depth=1
	s_or_b64 exec, exec, s[24:25]
	ds_bpermute_b32 v8, v26, v15
	s_bcnt1_i32_b64 s10, vcc
	v_lshl_add_u64 v[6:7], s[10:11], 0, v[6:7]
	s_waitcnt lgkmcnt(0)
	v_min_i32_e32 v8, v8, v15
	ds_bpermute_b32 v14, v27, v8
	s_waitcnt lgkmcnt(0)
	v_min_i32_e32 v8, v14, v8
	ds_bpermute_b32 v14, v28, v8
	;; [unrolled: 3-line block ×5, first 2 shown]
	s_waitcnt lgkmcnt(0)
	v_min_i32_e32 v14, v14, v8
	v_ashrrev_i32_e32 v15, 31, v14
	v_cmp_le_i64_e32 vcc, s[14:15], v[14:15]
	s_or_b64 s[20:21], vcc, s[20:21]
	s_andn2_b64 exec, exec, s[20:21]
	s_cbranch_execz .LBB3_37
.LBB3_15:                               ; =>This Loop Header: Depth=1
                                        ;     Child Loop BB3_18 Depth 2
                                        ;     Child Loop BB3_28 Depth 2
	v_cmp_lt_i64_e32 vcc, v[10:11], v[2:3]
	v_mov_b32_e32 v15, v35
	ds_write_b8 v32, v9
	ds_write_b32 v24, v9
	s_waitcnt lgkmcnt(0)
	s_and_saveexec_b64 s[24:25], vcc
	s_cbranch_execz .LBB3_25
; %bb.16:                               ;   in Loop: Header=BB3_15 Depth=1
	v_lshlrev_b64 v[18:19], 2, v[10:11]
	v_lshl_add_u64 v[16:17], s[2:3], 0, v[18:19]
	v_lshl_add_u64 v[18:19], s[18:19], 0, v[18:19]
	s_mov_b64 s[26:27], 0
	v_mov_b32_e32 v15, v35
	s_branch .LBB3_18
.LBB3_17:                               ;   in Loop: Header=BB3_18 Depth=2
	s_or_b64 exec, exec, s[28:29]
	s_and_b64 s[0:1], exec, s[0:1]
	s_or_b64 s[26:27], s[0:1], s[26:27]
	s_andn2_b64 exec, exec, s[26:27]
	s_cbranch_execz .LBB3_24
.LBB3_18:                               ;   Parent Loop BB3_15 Depth=1
                                        ; =>  This Inner Loop Header: Depth=2
	global_load_dword v8, v[16:17], off
	s_waitcnt vmcnt(0)
	v_subrev_u32_e32 v34, s8, v8
	v_sub_u32_e32 v8, v34, v14
	v_cmp_gt_u32_e32 vcc, 64, v8
	v_cmp_lt_u32_e64 s[0:1], 63, v8
	s_and_saveexec_b64 s[28:29], s[0:1]
	s_xor_b64 s[0:1], exec, s[28:29]
	s_cbranch_execnz .LBB3_21
; %bb.19:                               ;   in Loop: Header=BB3_18 Depth=2
	s_andn2_saveexec_b64 s[0:1], s[0:1]
	s_cbranch_execnz .LBB3_22
.LBB3_20:                               ;   in Loop: Header=BB3_18 Depth=2
	s_or_b64 exec, exec, s[0:1]
	s_mov_b64 s[0:1], -1
	s_and_saveexec_b64 s[28:29], vcc
	s_cbranch_execz .LBB3_17
	s_branch .LBB3_23
.LBB3_21:                               ;   in Loop: Header=BB3_18 Depth=2
	v_min_i32_e32 v15, v34, v15
                                        ; implicit-def: $vgpr8
	s_andn2_saveexec_b64 s[0:1], s[0:1]
	s_cbranch_execz .LBB3_20
.LBB3_22:                               ;   in Loop: Header=BB3_18 Depth=2
	global_load_dword v34, v[18:19], off
	v_add_u32_e32 v36, v22, v8
	v_lshl_add_u32 v8, v8, 2, v23
	ds_write_b8 v36, v33
	s_waitcnt vmcnt(0)
	v_mul_f32_e32 v34, v20, v34
	ds_write_b32 v8, v34
	s_or_b64 exec, exec, s[0:1]
	s_mov_b64 s[0:1], -1
	s_and_saveexec_b64 s[28:29], vcc
	s_cbranch_execz .LBB3_17
.LBB3_23:                               ;   in Loop: Header=BB3_18 Depth=2
	v_lshl_add_u64 v[10:11], v[10:11], 0, 64
	v_cmp_ge_i64_e32 vcc, v[10:11], v[2:3]
	v_lshl_add_u64 v[16:17], v[16:17], 0, s[22:23]
	v_lshl_add_u64 v[18:19], v[18:19], 0, s[22:23]
	s_orn2_b64 s[0:1], vcc, exec
	s_branch .LBB3_17
.LBB3_24:                               ;   in Loop: Header=BB3_15 Depth=1
	s_or_b64 exec, exec, s[26:27]
.LBB3_25:                               ;   in Loop: Header=BB3_15 Depth=1
	s_or_b64 exec, exec, s[24:25]
	v_cmp_lt_i64_e32 vcc, v[12:13], v[4:5]
	s_waitcnt lgkmcnt(0)
	s_and_saveexec_b64 s[24:25], vcc
	s_cbranch_execz .LBB3_35
; %bb.26:                               ;   in Loop: Header=BB3_15 Depth=1
	v_lshlrev_b64 v[18:19], 2, v[12:13]
	v_lshl_add_u64 v[16:17], s[12:13], 0, v[18:19]
	v_lshl_add_u64 v[18:19], s[16:17], 0, v[18:19]
	s_mov_b64 s[26:27], 0
	s_branch .LBB3_28
.LBB3_27:                               ;   in Loop: Header=BB3_28 Depth=2
	s_or_b64 exec, exec, s[28:29]
	s_and_b64 s[0:1], exec, s[0:1]
	s_or_b64 s[26:27], s[0:1], s[26:27]
	s_andn2_b64 exec, exec, s[26:27]
	s_cbranch_execz .LBB3_34
.LBB3_28:                               ;   Parent Loop BB3_15 Depth=1
                                        ; =>  This Inner Loop Header: Depth=2
	global_load_dword v8, v[16:17], off
	s_waitcnt vmcnt(0)
	v_subrev_u32_e32 v34, s9, v8
	v_sub_u32_e32 v8, v34, v14
	v_cmp_gt_u32_e32 vcc, 64, v8
	v_cmp_lt_u32_e64 s[0:1], 63, v8
	s_and_saveexec_b64 s[28:29], s[0:1]
	s_xor_b64 s[0:1], exec, s[28:29]
	s_cbranch_execnz .LBB3_31
; %bb.29:                               ;   in Loop: Header=BB3_28 Depth=2
	s_andn2_saveexec_b64 s[0:1], s[0:1]
	s_cbranch_execnz .LBB3_32
.LBB3_30:                               ;   in Loop: Header=BB3_28 Depth=2
	s_or_b64 exec, exec, s[0:1]
	s_mov_b64 s[0:1], -1
	s_and_saveexec_b64 s[28:29], vcc
	s_cbranch_execz .LBB3_27
	s_branch .LBB3_33
.LBB3_31:                               ;   in Loop: Header=BB3_28 Depth=2
	v_min_i32_e32 v15, v34, v15
                                        ; implicit-def: $vgpr8
	s_andn2_saveexec_b64 s[0:1], s[0:1]
	s_cbranch_execz .LBB3_30
.LBB3_32:                               ;   in Loop: Header=BB3_28 Depth=2
	global_load_dword v34, v[18:19], off
	v_lshl_add_u32 v36, v8, 2, v23
	ds_read_b32 v37, v36
	v_add_u32_e32 v8, v22, v8
	ds_write_b8 v8, v33
	s_waitcnt vmcnt(0) lgkmcnt(1)
	v_fmac_f32_e32 v37, v21, v34
	ds_write_b32 v36, v37
	s_or_b64 exec, exec, s[0:1]
	s_mov_b64 s[0:1], -1
	s_and_saveexec_b64 s[28:29], vcc
	s_cbranch_execz .LBB3_27
.LBB3_33:                               ;   in Loop: Header=BB3_28 Depth=2
	v_lshl_add_u64 v[12:13], v[12:13], 0, 64
	v_cmp_ge_i64_e32 vcc, v[12:13], v[4:5]
	v_lshl_add_u64 v[16:17], v[16:17], 0, s[22:23]
	v_lshl_add_u64 v[18:19], v[18:19], 0, s[22:23]
	s_orn2_b64 s[0:1], vcc, exec
	s_branch .LBB3_27
.LBB3_34:                               ;   in Loop: Header=BB3_15 Depth=1
	s_or_b64 exec, exec, s[26:27]
.LBB3_35:                               ;   in Loop: Header=BB3_15 Depth=1
	s_or_b64 exec, exec, s[24:25]
	s_waitcnt lgkmcnt(0)
	ds_read_u8 v8, v32
	s_waitcnt lgkmcnt(0)
	v_and_b32_e32 v16, 1, v8
	v_cmp_eq_u32_e64 s[0:1], 1, v16
	v_cmp_ne_u16_e32 vcc, 0, v8
	s_and_saveexec_b64 s[24:25], s[0:1]
	s_cbranch_execz .LBB3_14
; %bb.36:                               ;   in Loop: Header=BB3_15 Depth=1
	v_and_b32_e32 v16, vcc_lo, v0
	v_and_b32_e32 v8, vcc_hi, v1
	v_bcnt_u32_b32 v16, v16, 0
	v_bcnt_u32_b32 v8, v8, v16
	v_lshl_add_u64 v[16:17], v[6:7], 0, v[8:9]
	ds_read_b32 v8, v24
	v_lshlrev_b64 v[16:17], 2, v[16:17]
	v_add_u32_e32 v14, v25, v14
	v_lshl_add_u64 v[18:19], s[4:5], 0, v[16:17]
	v_lshl_add_u64 v[16:17], s[6:7], 0, v[16:17]
	global_store_dword v[18:19], v14, off offset:-4
	s_waitcnt lgkmcnt(0)
	global_store_dword v[16:17], v8, off offset:-4
	s_branch .LBB3_14
.LBB3_37:
	s_endpgm
	.section	.rodata,"a",@progbits
	.p2align	6, 0x0
	.amdhsa_kernel _ZN9rocsparseL29csrgeam_fill_multipass_kernelILj256ELj64ElifEEvllNS_24const_host_device_scalarIT3_EEPKT1_PKT2_PKS2_S3_S6_S9_SB_S6_PS7_PS2_21rocsparse_index_base_SE_SE_bbb
		.amdhsa_group_segment_fixed_size 1280
		.amdhsa_private_segment_fixed_size 0
		.amdhsa_kernarg_size 120
		.amdhsa_user_sgpr_count 2
		.amdhsa_user_sgpr_dispatch_ptr 0
		.amdhsa_user_sgpr_queue_ptr 0
		.amdhsa_user_sgpr_kernarg_segment_ptr 1
		.amdhsa_user_sgpr_dispatch_id 0
		.amdhsa_user_sgpr_kernarg_preload_length 0
		.amdhsa_user_sgpr_kernarg_preload_offset 0
		.amdhsa_user_sgpr_private_segment_size 0
		.amdhsa_uses_dynamic_stack 0
		.amdhsa_enable_private_segment 0
		.amdhsa_system_sgpr_workgroup_id_x 1
		.amdhsa_system_sgpr_workgroup_id_y 0
		.amdhsa_system_sgpr_workgroup_id_z 0
		.amdhsa_system_sgpr_workgroup_info 0
		.amdhsa_system_vgpr_workitem_id 0
		.amdhsa_next_free_vgpr 38
		.amdhsa_next_free_sgpr 30
		.amdhsa_accum_offset 40
		.amdhsa_reserve_vcc 1
		.amdhsa_float_round_mode_32 0
		.amdhsa_float_round_mode_16_64 0
		.amdhsa_float_denorm_mode_32 3
		.amdhsa_float_denorm_mode_16_64 3
		.amdhsa_dx10_clamp 1
		.amdhsa_ieee_mode 1
		.amdhsa_fp16_overflow 0
		.amdhsa_tg_split 0
		.amdhsa_exception_fp_ieee_invalid_op 0
		.amdhsa_exception_fp_denorm_src 0
		.amdhsa_exception_fp_ieee_div_zero 0
		.amdhsa_exception_fp_ieee_overflow 0
		.amdhsa_exception_fp_ieee_underflow 0
		.amdhsa_exception_fp_ieee_inexact 0
		.amdhsa_exception_int_div_zero 0
	.end_amdhsa_kernel
	.section	.text._ZN9rocsparseL29csrgeam_fill_multipass_kernelILj256ELj64ElifEEvllNS_24const_host_device_scalarIT3_EEPKT1_PKT2_PKS2_S3_S6_S9_SB_S6_PS7_PS2_21rocsparse_index_base_SE_SE_bbb,"axG",@progbits,_ZN9rocsparseL29csrgeam_fill_multipass_kernelILj256ELj64ElifEEvllNS_24const_host_device_scalarIT3_EEPKT1_PKT2_PKS2_S3_S6_S9_SB_S6_PS7_PS2_21rocsparse_index_base_SE_SE_bbb,comdat
.Lfunc_end3:
	.size	_ZN9rocsparseL29csrgeam_fill_multipass_kernelILj256ELj64ElifEEvllNS_24const_host_device_scalarIT3_EEPKT1_PKT2_PKS2_S3_S6_S9_SB_S6_PS7_PS2_21rocsparse_index_base_SE_SE_bbb, .Lfunc_end3-_ZN9rocsparseL29csrgeam_fill_multipass_kernelILj256ELj64ElifEEvllNS_24const_host_device_scalarIT3_EEPKT1_PKT2_PKS2_S3_S6_S9_SB_S6_PS7_PS2_21rocsparse_index_base_SE_SE_bbb
                                        ; -- End function
	.set _ZN9rocsparseL29csrgeam_fill_multipass_kernelILj256ELj64ElifEEvllNS_24const_host_device_scalarIT3_EEPKT1_PKT2_PKS2_S3_S6_S9_SB_S6_PS7_PS2_21rocsparse_index_base_SE_SE_bbb.num_vgpr, 38
	.set _ZN9rocsparseL29csrgeam_fill_multipass_kernelILj256ELj64ElifEEvllNS_24const_host_device_scalarIT3_EEPKT1_PKT2_PKS2_S3_S6_S9_SB_S6_PS7_PS2_21rocsparse_index_base_SE_SE_bbb.num_agpr, 0
	.set _ZN9rocsparseL29csrgeam_fill_multipass_kernelILj256ELj64ElifEEvllNS_24const_host_device_scalarIT3_EEPKT1_PKT2_PKS2_S3_S6_S9_SB_S6_PS7_PS2_21rocsparse_index_base_SE_SE_bbb.numbered_sgpr, 30
	.set _ZN9rocsparseL29csrgeam_fill_multipass_kernelILj256ELj64ElifEEvllNS_24const_host_device_scalarIT3_EEPKT1_PKT2_PKS2_S3_S6_S9_SB_S6_PS7_PS2_21rocsparse_index_base_SE_SE_bbb.num_named_barrier, 0
	.set _ZN9rocsparseL29csrgeam_fill_multipass_kernelILj256ELj64ElifEEvllNS_24const_host_device_scalarIT3_EEPKT1_PKT2_PKS2_S3_S6_S9_SB_S6_PS7_PS2_21rocsparse_index_base_SE_SE_bbb.private_seg_size, 0
	.set _ZN9rocsparseL29csrgeam_fill_multipass_kernelILj256ELj64ElifEEvllNS_24const_host_device_scalarIT3_EEPKT1_PKT2_PKS2_S3_S6_S9_SB_S6_PS7_PS2_21rocsparse_index_base_SE_SE_bbb.uses_vcc, 1
	.set _ZN9rocsparseL29csrgeam_fill_multipass_kernelILj256ELj64ElifEEvllNS_24const_host_device_scalarIT3_EEPKT1_PKT2_PKS2_S3_S6_S9_SB_S6_PS7_PS2_21rocsparse_index_base_SE_SE_bbb.uses_flat_scratch, 0
	.set _ZN9rocsparseL29csrgeam_fill_multipass_kernelILj256ELj64ElifEEvllNS_24const_host_device_scalarIT3_EEPKT1_PKT2_PKS2_S3_S6_S9_SB_S6_PS7_PS2_21rocsparse_index_base_SE_SE_bbb.has_dyn_sized_stack, 0
	.set _ZN9rocsparseL29csrgeam_fill_multipass_kernelILj256ELj64ElifEEvllNS_24const_host_device_scalarIT3_EEPKT1_PKT2_PKS2_S3_S6_S9_SB_S6_PS7_PS2_21rocsparse_index_base_SE_SE_bbb.has_recursion, 0
	.set _ZN9rocsparseL29csrgeam_fill_multipass_kernelILj256ELj64ElifEEvllNS_24const_host_device_scalarIT3_EEPKT1_PKT2_PKS2_S3_S6_S9_SB_S6_PS7_PS2_21rocsparse_index_base_SE_SE_bbb.has_indirect_call, 0
	.section	.AMDGPU.csdata,"",@progbits
; Kernel info:
; codeLenInByte = 1532
; TotalNumSgprs: 36
; NumVgprs: 38
; NumAgprs: 0
; TotalNumVgprs: 38
; ScratchSize: 0
; MemoryBound: 0
; FloatMode: 240
; IeeeMode: 1
; LDSByteSize: 1280 bytes/workgroup (compile time only)
; SGPRBlocks: 4
; VGPRBlocks: 4
; NumSGPRsForWavesPerEU: 36
; NumVGPRsForWavesPerEU: 38
; AccumOffset: 40
; Occupancy: 8
; WaveLimiterHint : 1
; COMPUTE_PGM_RSRC2:SCRATCH_EN: 0
; COMPUTE_PGM_RSRC2:USER_SGPR: 2
; COMPUTE_PGM_RSRC2:TRAP_HANDLER: 0
; COMPUTE_PGM_RSRC2:TGID_X_EN: 1
; COMPUTE_PGM_RSRC2:TGID_Y_EN: 0
; COMPUTE_PGM_RSRC2:TGID_Z_EN: 0
; COMPUTE_PGM_RSRC2:TIDIG_COMP_CNT: 0
; COMPUTE_PGM_RSRC3_GFX90A:ACCUM_OFFSET: 9
; COMPUTE_PGM_RSRC3_GFX90A:TG_SPLIT: 0
	.section	.text._ZN9rocsparseL29csrgeam_fill_multipass_kernelILj256ELj32EllfEEvllNS_24const_host_device_scalarIT3_EEPKT1_PKT2_PKS2_S3_S6_S9_SB_S6_PS7_PS2_21rocsparse_index_base_SE_SE_bbb,"axG",@progbits,_ZN9rocsparseL29csrgeam_fill_multipass_kernelILj256ELj32EllfEEvllNS_24const_host_device_scalarIT3_EEPKT1_PKT2_PKS2_S3_S6_S9_SB_S6_PS7_PS2_21rocsparse_index_base_SE_SE_bbb,comdat
	.globl	_ZN9rocsparseL29csrgeam_fill_multipass_kernelILj256ELj32EllfEEvllNS_24const_host_device_scalarIT3_EEPKT1_PKT2_PKS2_S3_S6_S9_SB_S6_PS7_PS2_21rocsparse_index_base_SE_SE_bbb ; -- Begin function _ZN9rocsparseL29csrgeam_fill_multipass_kernelILj256ELj32EllfEEvllNS_24const_host_device_scalarIT3_EEPKT1_PKT2_PKS2_S3_S6_S9_SB_S6_PS7_PS2_21rocsparse_index_base_SE_SE_bbb
	.p2align	8
	.type	_ZN9rocsparseL29csrgeam_fill_multipass_kernelILj256ELj32EllfEEvllNS_24const_host_device_scalarIT3_EEPKT1_PKT2_PKS2_S3_S6_S9_SB_S6_PS7_PS2_21rocsparse_index_base_SE_SE_bbb,@function
_ZN9rocsparseL29csrgeam_fill_multipass_kernelILj256ELj32EllfEEvllNS_24const_host_device_scalarIT3_EEPKT1_PKT2_PKS2_S3_S6_S9_SB_S6_PS7_PS2_21rocsparse_index_base_SE_SE_bbb: ; @_ZN9rocsparseL29csrgeam_fill_multipass_kernelILj256ELj32EllfEEvllNS_24const_host_device_scalarIT3_EEPKT1_PKT2_PKS2_S3_S6_S9_SB_S6_PS7_PS2_21rocsparse_index_base_SE_SE_bbb
; %bb.0:
	s_load_dwordx4 s[8:11], s[0:1], 0x68
	s_load_dwordx2 s[6:7], s[0:1], 0x30
	s_load_dword s3, s[0:1], 0x74
	s_load_dwordx4 s[12:15], s[0:1], 0x0
	s_load_dwordx2 s[18:19], s[0:1], 0x10
	s_waitcnt lgkmcnt(0)
	s_bitcmp1_b32 s11, 0
	s_cselect_b64 s[4:5], -1, 0
	s_bitcmp1_b32 s3, 16
	s_cselect_b64 s[16:17], -1, 0
	s_xor_b64 s[20:21], s[4:5], -1
	s_or_b64 s[20:21], s[16:17], s[20:21]
	s_and_b64 vcc, exec, s[20:21]
	s_cbranch_vccnz .LBB4_2
; %bb.1:
	s_load_dword s4, s[18:19], 0x0
	s_waitcnt lgkmcnt(0)
	v_mov_b32_e32 v26, s4
	s_branch .LBB4_3
.LBB4_2:
	v_mov_b32_e32 v1, s18
	v_cndmask_b32_e64 v26, 0, v1, s[4:5]
.LBB4_3:
	s_bitcmp1_b32 s3, 8
	s_cselect_b64 s[4:5], -1, 0
	s_xor_b64 s[18:19], s[4:5], -1
	s_or_b64 s[16:17], s[16:17], s[18:19]
	s_and_b64 vcc, exec, s[16:17]
	s_cbranch_vccnz .LBB4_5
; %bb.4:
	s_load_dword s3, s[6:7], 0x0
	s_waitcnt lgkmcnt(0)
	v_mov_b32_e32 v27, s3
	s_branch .LBB4_6
.LBB4_5:
	v_mov_b32_e32 v1, s6
	v_cndmask_b32_e64 v27, 0, v1, s[4:5]
.LBB4_6:
	s_lshl_b32 s2, s2, 3
	v_lshrrev_b32_e32 v1, 5, v0
	s_and_b32 s2, s2, 0x7fffff8
	v_or_b32_e32 v2, s2, v1
	v_mov_b32_e32 v3, 0
	v_cmp_gt_i64_e32 vcc, s[12:13], v[2:3]
	s_and_saveexec_b64 s[2:3], vcc
	s_cbranch_execz .LBB4_35
; %bb.7:
	s_load_dwordx4 s[4:7], s[0:1], 0x18
	s_load_dwordx4 s[16:19], s[0:1], 0x38
	s_load_dwordx2 s[2:3], s[0:1], 0x50
	v_lshlrev_b32_e32 v1, 3, v2
	v_mov_b64_e32 v[14:15], s[14:15]
	s_waitcnt lgkmcnt(0)
	global_load_dwordx4 v[2:5], v1, s[4:5]
	global_load_dwordx4 v[6:9], v1, s[16:17]
	global_load_dwordx2 v[12:13], v1, s[2:3]
	s_waitcnt vmcnt(2)
	v_subrev_co_u32_e32 v10, vcc, s8, v2
	s_nop 1
	v_subbrev_co_u32_e32 v11, vcc, 0, v3, vcc
	v_cmp_lt_i64_e32 vcc, v[2:3], v[4:5]
	s_and_saveexec_b64 s[2:3], vcc
	s_cbranch_execz .LBB4_9
; %bb.8:
	v_lshl_add_u64 v[2:3], v[10:11], 3, s[6:7]
	global_load_dwordx2 v[2:3], v[2:3], off
	s_waitcnt vmcnt(0)
	v_subrev_co_u32_e32 v14, vcc, s8, v2
	s_nop 1
	v_subbrev_co_u32_e32 v15, vcc, 0, v3, vcc
.LBB4_9:
	s_or_b64 exec, exec, s[2:3]
	s_load_dwordx4 s[20:23], s[0:1], 0x58
	s_load_dwordx2 s[2:3], s[0:1], 0x48
	s_load_dwordx2 s[4:5], s[0:1], 0x28
	s_waitcnt vmcnt(1)
	v_subrev_co_u32_e32 v16, vcc, s9, v6
	s_mov_b32 s33, s9
	s_nop 0
	v_subbrev_co_u32_e32 v17, vcc, 0, v7, vcc
	v_cmp_lt_i64_e32 vcc, v[6:7], v[8:9]
	v_mov_b64_e32 v[18:19], s[14:15]
	s_and_saveexec_b64 s[0:1], vcc
	s_cbranch_execz .LBB4_11
; %bb.10:
	v_lshl_add_u64 v[2:3], v[16:17], 3, s[18:19]
	global_load_dwordx2 v[2:3], v[2:3], off
	s_waitcnt vmcnt(0)
	v_subrev_co_u32_e32 v18, vcc, s33, v2
	s_nop 1
	v_subbrev_co_u32_e32 v19, vcc, 0, v3, vcc
.LBB4_11:
	s_or_b64 exec, exec, s[0:1]
	v_subrev_co_u32_e32 v2, vcc, s8, v4
	v_and_b32_e32 v1, 0xe0, v0
	s_nop 0
	v_subbrev_co_u32_e32 v3, vcc, 0, v5, vcc
	v_subrev_co_u32_e32 v4, vcc, s33, v8
	v_or_b32_e32 v28, 0x400, v1
	s_nop 0
	v_subbrev_co_u32_e32 v5, vcc, 0, v9, vcc
	v_lshlrev_b32_e32 v29, 2, v1
	s_waitcnt vmcnt(0)
	v_subrev_co_u32_e32 v6, vcc, s10, v12
	v_and_b32_e32 v8, 31, v0
	v_mov_b32_e32 v9, 0
	v_mbcnt_lo_u32_b32 v1, -1, 0
	v_subbrev_co_u32_e32 v7, vcc, 0, v13, vcc
	v_lshl_add_u64 v[12:13], v[16:17], 0, v[8:9]
	v_mbcnt_hi_u32_b32 v16, -1, v1
	v_cmp_lt_i64_e32 vcc, v[18:19], v[14:15]
	v_and_b32_e32 v1, 64, v16
	v_add_u32_e32 v17, 64, v1
	v_cndmask_b32_e32 v14, v14, v18, vcc
	v_xor_b32_e32 v18, 16, v16
	v_cndmask_b32_e32 v15, v15, v19, vcc
	v_cmp_lt_i32_e32 vcc, v18, v17
	s_mov_b32 s11, 0
	v_bitop3_b32 v0, v0, 31, v0 bitop3:0xc
	v_cndmask_b32_e32 v18, v16, v18, vcc
	v_lshlrev_b32_e32 v32, 2, v18
	v_xor_b32_e32 v18, 8, v16
	v_cmp_lt_i32_e32 vcc, v18, v17
	v_lshl_add_u64 v[10:11], v[10:11], 0, v[8:9]
	v_lshl_or_b32 v30, v8, 2, v29
	v_cndmask_b32_e32 v18, v16, v18, vcc
	v_lshlrev_b32_e32 v33, 2, v18
	v_xor_b32_e32 v18, 4, v16
	v_cmp_lt_i32_e32 vcc, v18, v17
	v_lshrrev_b32_e64 v31, v0, -1
	v_lshl_add_u64 v[0:1], s[10:11], 0, v[8:9]
	v_cndmask_b32_e32 v18, v16, v18, vcc
	v_lshlrev_b32_e32 v34, 2, v18
	v_xor_b32_e32 v18, 2, v16
	v_cmp_lt_i32_e32 vcc, v18, v17
	s_mov_b64 s[12:13], 0
	v_add_u32_e32 v37, v28, v8
	v_cndmask_b32_e32 v18, v16, v18, vcc
	v_lshlrev_b32_e32 v35, 2, v18
	v_xor_b32_e32 v18, 1, v16
	v_cmp_lt_i32_e32 vcc, v18, v17
	v_mov_b32_e32 v38, 1
	s_mov_b64 s[16:17], 0x100
	v_cndmask_b32_e32 v16, v16, v18, vcc
	v_lshlrev_b32_e32 v36, 2, v16
	s_mov_b64 s[24:25], 0x80
	s_branch .LBB4_13
.LBB4_12:                               ;   in Loop: Header=BB4_13 Depth=1
	s_or_b64 exec, exec, s[26:27]
	ds_bpermute_b32 v14, v32, v16
	ds_bpermute_b32 v15, v32, v17
	s_bcnt1_i32_b64 s10, vcc
	v_lshl_add_u64 v[6:7], s[10:11], 0, v[6:7]
	s_waitcnt lgkmcnt(0)
	v_cmp_lt_i64_e64 s[0:1], v[14:15], v[16:17]
	s_nop 1
	v_cndmask_b32_e64 v15, v17, v15, s[0:1]
	v_cndmask_b32_e64 v14, v16, v14, s[0:1]
	ds_bpermute_b32 v17, v33, v15
	ds_bpermute_b32 v16, v33, v14
	s_waitcnt lgkmcnt(0)
	v_cmp_lt_i64_e64 s[0:1], v[16:17], v[14:15]
	s_nop 1
	v_cndmask_b32_e64 v15, v15, v17, s[0:1]
	v_cndmask_b32_e64 v14, v14, v16, s[0:1]
	ds_bpermute_b32 v17, v34, v15
	ds_bpermute_b32 v16, v34, v14
	;; [unrolled: 7-line block ×4, first 2 shown]
	s_waitcnt lgkmcnt(0)
	v_cmp_lt_i64_e32 vcc, v[16:17], v[14:15]
	s_nop 1
	v_cndmask_b32_e32 v15, v15, v17, vcc
	v_cndmask_b32_e32 v14, v14, v16, vcc
	v_cmp_le_i64_e32 vcc, s[14:15], v[14:15]
	s_or_b64 s[12:13], vcc, s[12:13]
	s_andn2_b64 exec, exec, s[12:13]
	s_cbranch_execz .LBB4_35
.LBB4_13:                               ; =>This Loop Header: Depth=1
                                        ;     Child Loop BB4_16 Depth 2
                                        ;     Child Loop BB4_26 Depth 2
	v_cmp_lt_i64_e32 vcc, v[10:11], v[2:3]
	v_mov_b64_e32 v[16:17], s[14:15]
	ds_write_b8 v37, v9
	ds_write_b32 v30, v9
	s_waitcnt lgkmcnt(0)
	s_and_saveexec_b64 s[26:27], vcc
	s_cbranch_execz .LBB4_23
; %bb.14:                               ;   in Loop: Header=BB4_13 Depth=1
	v_lshl_add_u64 v[18:19], v[10:11], 3, s[6:7]
	v_lshl_add_u64 v[20:21], v[10:11], 2, s[4:5]
	s_mov_b64 s[28:29], 0
	v_mov_b64_e32 v[16:17], s[14:15]
	s_branch .LBB4_16
.LBB4_15:                               ;   in Loop: Header=BB4_16 Depth=2
	s_or_b64 exec, exec, s[30:31]
	s_and_b64 s[0:1], exec, s[0:1]
	s_or_b64 s[28:29], s[0:1], s[28:29]
	s_andn2_b64 exec, exec, s[28:29]
	s_cbranch_execz .LBB4_22
.LBB4_16:                               ;   Parent Loop BB4_13 Depth=1
                                        ; =>  This Inner Loop Header: Depth=2
	global_load_dwordx2 v[22:23], v[18:19], off
	s_waitcnt vmcnt(0)
	v_subrev_co_u32_e32 v24, vcc, s8, v22
	s_nop 1
	v_subbrev_co_u32_e32 v25, vcc, 0, v23, vcc
	v_sub_co_u32_e32 v22, vcc, v24, v14
	s_nop 1
	v_subb_co_u32_e32 v23, vcc, v25, v15, vcc
	v_cmp_gt_i64_e32 vcc, 32, v[22:23]
	v_cmp_lt_i64_e64 s[0:1], 31, v[22:23]
	s_and_saveexec_b64 s[30:31], s[0:1]
	s_xor_b64 s[30:31], exec, s[30:31]
	s_cbranch_execnz .LBB4_19
; %bb.17:                               ;   in Loop: Header=BB4_16 Depth=2
	s_andn2_saveexec_b64 s[0:1], s[30:31]
	s_cbranch_execnz .LBB4_20
.LBB4_18:                               ;   in Loop: Header=BB4_16 Depth=2
	s_or_b64 exec, exec, s[0:1]
	s_mov_b64 s[0:1], -1
	s_and_saveexec_b64 s[30:31], vcc
	s_cbranch_execz .LBB4_15
	s_branch .LBB4_21
.LBB4_19:                               ;   in Loop: Header=BB4_16 Depth=2
	v_cmp_lt_i64_e64 s[0:1], v[24:25], v[16:17]
                                        ; implicit-def: $vgpr22
	s_nop 1
	v_cndmask_b32_e64 v17, v17, v25, s[0:1]
	v_cndmask_b32_e64 v16, v16, v24, s[0:1]
	s_andn2_saveexec_b64 s[0:1], s[30:31]
	s_cbranch_execz .LBB4_18
.LBB4_20:                               ;   in Loop: Header=BB4_16 Depth=2
	global_load_dword v8, v[20:21], off
	v_add_u32_e32 v23, v28, v22
	v_lshl_add_u32 v22, v22, 2, v29
	ds_write_b8 v23, v38
	s_waitcnt vmcnt(0)
	v_mul_f32_e32 v8, v26, v8
	ds_write_b32 v22, v8
	s_or_b64 exec, exec, s[0:1]
	s_mov_b64 s[0:1], -1
	s_and_saveexec_b64 s[30:31], vcc
	s_cbranch_execz .LBB4_15
.LBB4_21:                               ;   in Loop: Header=BB4_16 Depth=2
	v_lshl_add_u64 v[10:11], v[10:11], 0, 32
	v_cmp_ge_i64_e32 vcc, v[10:11], v[2:3]
	v_lshl_add_u64 v[18:19], v[18:19], 0, s[16:17]
	v_lshl_add_u64 v[20:21], v[20:21], 0, s[24:25]
	s_orn2_b64 s[0:1], vcc, exec
	s_branch .LBB4_15
.LBB4_22:                               ;   in Loop: Header=BB4_13 Depth=1
	s_or_b64 exec, exec, s[28:29]
.LBB4_23:                               ;   in Loop: Header=BB4_13 Depth=1
	s_or_b64 exec, exec, s[26:27]
	v_cmp_lt_i64_e32 vcc, v[12:13], v[4:5]
	s_waitcnt lgkmcnt(0)
	s_and_saveexec_b64 s[26:27], vcc
	s_cbranch_execz .LBB4_33
; %bb.24:                               ;   in Loop: Header=BB4_13 Depth=1
	v_lshl_add_u64 v[18:19], v[12:13], 3, s[18:19]
	v_lshl_add_u64 v[20:21], v[12:13], 2, s[2:3]
	s_mov_b64 s[28:29], 0
	s_branch .LBB4_26
.LBB4_25:                               ;   in Loop: Header=BB4_26 Depth=2
	s_or_b64 exec, exec, s[30:31]
	s_and_b64 s[0:1], exec, s[0:1]
	s_or_b64 s[28:29], s[0:1], s[28:29]
	s_andn2_b64 exec, exec, s[28:29]
	s_cbranch_execz .LBB4_32
.LBB4_26:                               ;   Parent Loop BB4_13 Depth=1
                                        ; =>  This Inner Loop Header: Depth=2
	global_load_dwordx2 v[22:23], v[18:19], off
	s_waitcnt vmcnt(0)
	v_subrev_co_u32_e32 v24, vcc, s33, v22
	s_nop 1
	v_subbrev_co_u32_e32 v25, vcc, 0, v23, vcc
	v_sub_co_u32_e32 v22, vcc, v24, v14
	s_nop 1
	v_subb_co_u32_e32 v23, vcc, v25, v15, vcc
	v_cmp_gt_i64_e32 vcc, 32, v[22:23]
	v_cmp_lt_i64_e64 s[0:1], 31, v[22:23]
	s_and_saveexec_b64 s[30:31], s[0:1]
	s_xor_b64 s[30:31], exec, s[30:31]
	s_cbranch_execnz .LBB4_29
; %bb.27:                               ;   in Loop: Header=BB4_26 Depth=2
	s_andn2_saveexec_b64 s[0:1], s[30:31]
	s_cbranch_execnz .LBB4_30
.LBB4_28:                               ;   in Loop: Header=BB4_26 Depth=2
	s_or_b64 exec, exec, s[0:1]
	s_mov_b64 s[0:1], -1
	s_and_saveexec_b64 s[30:31], vcc
	s_cbranch_execz .LBB4_25
	s_branch .LBB4_31
.LBB4_29:                               ;   in Loop: Header=BB4_26 Depth=2
	v_cmp_lt_i64_e64 s[0:1], v[24:25], v[16:17]
                                        ; implicit-def: $vgpr22
	s_nop 1
	v_cndmask_b32_e64 v17, v17, v25, s[0:1]
	v_cndmask_b32_e64 v16, v16, v24, s[0:1]
	s_andn2_saveexec_b64 s[0:1], s[30:31]
	s_cbranch_execz .LBB4_28
.LBB4_30:                               ;   in Loop: Header=BB4_26 Depth=2
	global_load_dword v8, v[20:21], off
	v_lshl_add_u32 v23, v22, 2, v29
	ds_read_b32 v24, v23
	v_add_u32_e32 v22, v28, v22
	ds_write_b8 v22, v38
	s_waitcnt vmcnt(0) lgkmcnt(1)
	v_fmac_f32_e32 v24, v27, v8
	ds_write_b32 v23, v24
	s_or_b64 exec, exec, s[0:1]
	s_mov_b64 s[0:1], -1
	s_and_saveexec_b64 s[30:31], vcc
	s_cbranch_execz .LBB4_25
.LBB4_31:                               ;   in Loop: Header=BB4_26 Depth=2
	v_lshl_add_u64 v[12:13], v[12:13], 0, 32
	v_cmp_ge_i64_e32 vcc, v[12:13], v[4:5]
	v_lshl_add_u64 v[18:19], v[18:19], 0, s[16:17]
	v_lshl_add_u64 v[20:21], v[20:21], 0, s[24:25]
	s_orn2_b64 s[0:1], vcc, exec
	s_branch .LBB4_25
.LBB4_32:                               ;   in Loop: Header=BB4_13 Depth=1
	s_or_b64 exec, exec, s[28:29]
.LBB4_33:                               ;   in Loop: Header=BB4_13 Depth=1
	s_or_b64 exec, exec, s[26:27]
	s_waitcnt lgkmcnt(0)
	ds_read_u8 v8, v37
	s_waitcnt lgkmcnt(0)
	v_and_b32_e32 v18, 1, v8
	v_cmp_eq_u32_e64 s[0:1], 1, v18
	v_cmp_ne_u16_e32 vcc, 0, v8
	s_and_saveexec_b64 s[26:27], s[0:1]
	s_cbranch_execz .LBB4_12
; %bb.34:                               ;   in Loop: Header=BB4_13 Depth=1
	v_and_b32_e32 v8, vcc_lo, v31
	ds_read_b32 v22, v30
	v_bcnt_u32_b32 v8, v8, 0
	v_lshl_add_u64 v[18:19], v[6:7], 0, v[8:9]
	v_lshl_add_u64 v[14:15], v[0:1], 0, v[14:15]
	;; [unrolled: 1-line block ×3, first 2 shown]
	global_store_dwordx2 v[20:21], v[14:15], off offset:-8
	v_lshl_add_u64 v[14:15], v[18:19], 2, s[22:23]
	s_waitcnt lgkmcnt(0)
	global_store_dword v[14:15], v22, off offset:-4
	s_branch .LBB4_12
.LBB4_35:
	s_endpgm
	.section	.rodata,"a",@progbits
	.p2align	6, 0x0
	.amdhsa_kernel _ZN9rocsparseL29csrgeam_fill_multipass_kernelILj256ELj32EllfEEvllNS_24const_host_device_scalarIT3_EEPKT1_PKT2_PKS2_S3_S6_S9_SB_S6_PS7_PS2_21rocsparse_index_base_SE_SE_bbb
		.amdhsa_group_segment_fixed_size 1280
		.amdhsa_private_segment_fixed_size 0
		.amdhsa_kernarg_size 120
		.amdhsa_user_sgpr_count 2
		.amdhsa_user_sgpr_dispatch_ptr 0
		.amdhsa_user_sgpr_queue_ptr 0
		.amdhsa_user_sgpr_kernarg_segment_ptr 1
		.amdhsa_user_sgpr_dispatch_id 0
		.amdhsa_user_sgpr_kernarg_preload_length 0
		.amdhsa_user_sgpr_kernarg_preload_offset 0
		.amdhsa_user_sgpr_private_segment_size 0
		.amdhsa_uses_dynamic_stack 0
		.amdhsa_enable_private_segment 0
		.amdhsa_system_sgpr_workgroup_id_x 1
		.amdhsa_system_sgpr_workgroup_id_y 0
		.amdhsa_system_sgpr_workgroup_id_z 0
		.amdhsa_system_sgpr_workgroup_info 0
		.amdhsa_system_vgpr_workitem_id 0
		.amdhsa_next_free_vgpr 39
		.amdhsa_next_free_sgpr 34
		.amdhsa_accum_offset 40
		.amdhsa_reserve_vcc 1
		.amdhsa_float_round_mode_32 0
		.amdhsa_float_round_mode_16_64 0
		.amdhsa_float_denorm_mode_32 3
		.amdhsa_float_denorm_mode_16_64 3
		.amdhsa_dx10_clamp 1
		.amdhsa_ieee_mode 1
		.amdhsa_fp16_overflow 0
		.amdhsa_tg_split 0
		.amdhsa_exception_fp_ieee_invalid_op 0
		.amdhsa_exception_fp_denorm_src 0
		.amdhsa_exception_fp_ieee_div_zero 0
		.amdhsa_exception_fp_ieee_overflow 0
		.amdhsa_exception_fp_ieee_underflow 0
		.amdhsa_exception_fp_ieee_inexact 0
		.amdhsa_exception_int_div_zero 0
	.end_amdhsa_kernel
	.section	.text._ZN9rocsparseL29csrgeam_fill_multipass_kernelILj256ELj32EllfEEvllNS_24const_host_device_scalarIT3_EEPKT1_PKT2_PKS2_S3_S6_S9_SB_S6_PS7_PS2_21rocsparse_index_base_SE_SE_bbb,"axG",@progbits,_ZN9rocsparseL29csrgeam_fill_multipass_kernelILj256ELj32EllfEEvllNS_24const_host_device_scalarIT3_EEPKT1_PKT2_PKS2_S3_S6_S9_SB_S6_PS7_PS2_21rocsparse_index_base_SE_SE_bbb,comdat
.Lfunc_end4:
	.size	_ZN9rocsparseL29csrgeam_fill_multipass_kernelILj256ELj32EllfEEvllNS_24const_host_device_scalarIT3_EEPKT1_PKT2_PKS2_S3_S6_S9_SB_S6_PS7_PS2_21rocsparse_index_base_SE_SE_bbb, .Lfunc_end4-_ZN9rocsparseL29csrgeam_fill_multipass_kernelILj256ELj32EllfEEvllNS_24const_host_device_scalarIT3_EEPKT1_PKT2_PKS2_S3_S6_S9_SB_S6_PS7_PS2_21rocsparse_index_base_SE_SE_bbb
                                        ; -- End function
	.set _ZN9rocsparseL29csrgeam_fill_multipass_kernelILj256ELj32EllfEEvllNS_24const_host_device_scalarIT3_EEPKT1_PKT2_PKS2_S3_S6_S9_SB_S6_PS7_PS2_21rocsparse_index_base_SE_SE_bbb.num_vgpr, 39
	.set _ZN9rocsparseL29csrgeam_fill_multipass_kernelILj256ELj32EllfEEvllNS_24const_host_device_scalarIT3_EEPKT1_PKT2_PKS2_S3_S6_S9_SB_S6_PS7_PS2_21rocsparse_index_base_SE_SE_bbb.num_agpr, 0
	.set _ZN9rocsparseL29csrgeam_fill_multipass_kernelILj256ELj32EllfEEvllNS_24const_host_device_scalarIT3_EEPKT1_PKT2_PKS2_S3_S6_S9_SB_S6_PS7_PS2_21rocsparse_index_base_SE_SE_bbb.numbered_sgpr, 34
	.set _ZN9rocsparseL29csrgeam_fill_multipass_kernelILj256ELj32EllfEEvllNS_24const_host_device_scalarIT3_EEPKT1_PKT2_PKS2_S3_S6_S9_SB_S6_PS7_PS2_21rocsparse_index_base_SE_SE_bbb.num_named_barrier, 0
	.set _ZN9rocsparseL29csrgeam_fill_multipass_kernelILj256ELj32EllfEEvllNS_24const_host_device_scalarIT3_EEPKT1_PKT2_PKS2_S3_S6_S9_SB_S6_PS7_PS2_21rocsparse_index_base_SE_SE_bbb.private_seg_size, 0
	.set _ZN9rocsparseL29csrgeam_fill_multipass_kernelILj256ELj32EllfEEvllNS_24const_host_device_scalarIT3_EEPKT1_PKT2_PKS2_S3_S6_S9_SB_S6_PS7_PS2_21rocsparse_index_base_SE_SE_bbb.uses_vcc, 1
	.set _ZN9rocsparseL29csrgeam_fill_multipass_kernelILj256ELj32EllfEEvllNS_24const_host_device_scalarIT3_EEPKT1_PKT2_PKS2_S3_S6_S9_SB_S6_PS7_PS2_21rocsparse_index_base_SE_SE_bbb.uses_flat_scratch, 0
	.set _ZN9rocsparseL29csrgeam_fill_multipass_kernelILj256ELj32EllfEEvllNS_24const_host_device_scalarIT3_EEPKT1_PKT2_PKS2_S3_S6_S9_SB_S6_PS7_PS2_21rocsparse_index_base_SE_SE_bbb.has_dyn_sized_stack, 0
	.set _ZN9rocsparseL29csrgeam_fill_multipass_kernelILj256ELj32EllfEEvllNS_24const_host_device_scalarIT3_EEPKT1_PKT2_PKS2_S3_S6_S9_SB_S6_PS7_PS2_21rocsparse_index_base_SE_SE_bbb.has_recursion, 0
	.set _ZN9rocsparseL29csrgeam_fill_multipass_kernelILj256ELj32EllfEEvllNS_24const_host_device_scalarIT3_EEPKT1_PKT2_PKS2_S3_S6_S9_SB_S6_PS7_PS2_21rocsparse_index_base_SE_SE_bbb.has_indirect_call, 0
	.section	.AMDGPU.csdata,"",@progbits
; Kernel info:
; codeLenInByte = 1672
; TotalNumSgprs: 40
; NumVgprs: 39
; NumAgprs: 0
; TotalNumVgprs: 39
; ScratchSize: 0
; MemoryBound: 0
; FloatMode: 240
; IeeeMode: 1
; LDSByteSize: 1280 bytes/workgroup (compile time only)
; SGPRBlocks: 4
; VGPRBlocks: 4
; NumSGPRsForWavesPerEU: 40
; NumVGPRsForWavesPerEU: 39
; AccumOffset: 40
; Occupancy: 8
; WaveLimiterHint : 1
; COMPUTE_PGM_RSRC2:SCRATCH_EN: 0
; COMPUTE_PGM_RSRC2:USER_SGPR: 2
; COMPUTE_PGM_RSRC2:TRAP_HANDLER: 0
; COMPUTE_PGM_RSRC2:TGID_X_EN: 1
; COMPUTE_PGM_RSRC2:TGID_Y_EN: 0
; COMPUTE_PGM_RSRC2:TGID_Z_EN: 0
; COMPUTE_PGM_RSRC2:TIDIG_COMP_CNT: 0
; COMPUTE_PGM_RSRC3_GFX90A:ACCUM_OFFSET: 9
; COMPUTE_PGM_RSRC3_GFX90A:TG_SPLIT: 0
	.section	.text._ZN9rocsparseL29csrgeam_fill_multipass_kernelILj256ELj64EllfEEvllNS_24const_host_device_scalarIT3_EEPKT1_PKT2_PKS2_S3_S6_S9_SB_S6_PS7_PS2_21rocsparse_index_base_SE_SE_bbb,"axG",@progbits,_ZN9rocsparseL29csrgeam_fill_multipass_kernelILj256ELj64EllfEEvllNS_24const_host_device_scalarIT3_EEPKT1_PKT2_PKS2_S3_S6_S9_SB_S6_PS7_PS2_21rocsparse_index_base_SE_SE_bbb,comdat
	.globl	_ZN9rocsparseL29csrgeam_fill_multipass_kernelILj256ELj64EllfEEvllNS_24const_host_device_scalarIT3_EEPKT1_PKT2_PKS2_S3_S6_S9_SB_S6_PS7_PS2_21rocsparse_index_base_SE_SE_bbb ; -- Begin function _ZN9rocsparseL29csrgeam_fill_multipass_kernelILj256ELj64EllfEEvllNS_24const_host_device_scalarIT3_EEPKT1_PKT2_PKS2_S3_S6_S9_SB_S6_PS7_PS2_21rocsparse_index_base_SE_SE_bbb
	.p2align	8
	.type	_ZN9rocsparseL29csrgeam_fill_multipass_kernelILj256ELj64EllfEEvllNS_24const_host_device_scalarIT3_EEPKT1_PKT2_PKS2_S3_S6_S9_SB_S6_PS7_PS2_21rocsparse_index_base_SE_SE_bbb,@function
_ZN9rocsparseL29csrgeam_fill_multipass_kernelILj256ELj64EllfEEvllNS_24const_host_device_scalarIT3_EEPKT1_PKT2_PKS2_S3_S6_S9_SB_S6_PS7_PS2_21rocsparse_index_base_SE_SE_bbb: ; @_ZN9rocsparseL29csrgeam_fill_multipass_kernelILj256ELj64EllfEEvllNS_24const_host_device_scalarIT3_EEPKT1_PKT2_PKS2_S3_S6_S9_SB_S6_PS7_PS2_21rocsparse_index_base_SE_SE_bbb
; %bb.0:
	s_load_dwordx4 s[8:11], s[0:1], 0x68
	s_load_dwordx2 s[6:7], s[0:1], 0x30
	s_load_dword s3, s[0:1], 0x74
	s_load_dwordx4 s[12:15], s[0:1], 0x0
	s_load_dwordx2 s[18:19], s[0:1], 0x10
	s_waitcnt lgkmcnt(0)
	s_bitcmp1_b32 s11, 0
	s_cselect_b64 s[4:5], -1, 0
	s_bitcmp1_b32 s3, 16
	s_cselect_b64 s[16:17], -1, 0
	s_xor_b64 s[20:21], s[4:5], -1
	s_or_b64 s[20:21], s[16:17], s[20:21]
	s_and_b64 vcc, exec, s[20:21]
	s_cbranch_vccnz .LBB5_2
; %bb.1:
	s_load_dword s4, s[18:19], 0x0
	s_waitcnt lgkmcnt(0)
	v_mov_b32_e32 v28, s4
	s_branch .LBB5_3
.LBB5_2:
	v_mov_b32_e32 v1, s18
	v_cndmask_b32_e64 v28, 0, v1, s[4:5]
.LBB5_3:
	s_bitcmp1_b32 s3, 8
	s_cselect_b64 s[4:5], -1, 0
	s_xor_b64 s[18:19], s[4:5], -1
	s_or_b64 s[16:17], s[16:17], s[18:19]
	s_and_b64 vcc, exec, s[16:17]
	s_cbranch_vccnz .LBB5_5
; %bb.4:
	s_load_dword s3, s[6:7], 0x0
	s_waitcnt lgkmcnt(0)
	v_mov_b32_e32 v29, s3
	s_branch .LBB5_6
.LBB5_5:
	v_mov_b32_e32 v1, s6
	v_cndmask_b32_e64 v29, 0, v1, s[4:5]
.LBB5_6:
	s_lshl_b32 s2, s2, 2
	v_lshrrev_b32_e32 v1, 6, v0
	s_and_b32 s2, s2, 0x3fffffc
	v_or_b32_e32 v2, s2, v1
	v_mov_b32_e32 v3, 0
	v_cmp_gt_i64_e32 vcc, s[12:13], v[2:3]
	s_and_saveexec_b64 s[2:3], vcc
	s_cbranch_execz .LBB5_35
; %bb.7:
	s_load_dwordx4 s[4:7], s[0:1], 0x18
	s_load_dwordx4 s[16:19], s[0:1], 0x38
	s_load_dwordx2 s[2:3], s[0:1], 0x50
	v_lshlrev_b32_e32 v1, 3, v2
	v_mov_b64_e32 v[14:15], s[14:15]
	s_waitcnt lgkmcnt(0)
	global_load_dwordx4 v[2:5], v1, s[4:5]
	global_load_dwordx4 v[6:9], v1, s[16:17]
	global_load_dwordx2 v[12:13], v1, s[2:3]
	s_waitcnt vmcnt(2)
	v_subrev_co_u32_e32 v10, vcc, s8, v2
	s_nop 1
	v_subbrev_co_u32_e32 v11, vcc, 0, v3, vcc
	v_cmp_lt_i64_e32 vcc, v[2:3], v[4:5]
	s_and_saveexec_b64 s[2:3], vcc
	s_cbranch_execz .LBB5_9
; %bb.8:
	v_lshl_add_u64 v[2:3], v[10:11], 3, s[6:7]
	global_load_dwordx2 v[2:3], v[2:3], off
	s_waitcnt vmcnt(0)
	v_subrev_co_u32_e32 v14, vcc, s8, v2
	s_nop 1
	v_subbrev_co_u32_e32 v15, vcc, 0, v3, vcc
.LBB5_9:
	s_or_b64 exec, exec, s[2:3]
	s_load_dwordx4 s[20:23], s[0:1], 0x58
	s_load_dwordx2 s[2:3], s[0:1], 0x48
	s_load_dwordx2 s[4:5], s[0:1], 0x28
	s_waitcnt vmcnt(1)
	v_subrev_co_u32_e32 v18, vcc, s9, v6
	s_mov_b32 s33, s9
	s_nop 0
	v_subbrev_co_u32_e32 v19, vcc, 0, v7, vcc
	v_cmp_lt_i64_e32 vcc, v[6:7], v[8:9]
	v_mov_b64_e32 v[16:17], s[14:15]
	s_and_saveexec_b64 s[0:1], vcc
	s_cbranch_execz .LBB5_11
; %bb.10:
	v_lshl_add_u64 v[2:3], v[18:19], 3, s[18:19]
	global_load_dwordx2 v[2:3], v[2:3], off
	s_waitcnt vmcnt(0)
	v_subrev_co_u32_e32 v16, vcc, s33, v2
	s_nop 1
	v_subbrev_co_u32_e32 v17, vcc, 0, v3, vcc
.LBB5_11:
	s_or_b64 exec, exec, s[0:1]
	v_subrev_co_u32_e32 v2, vcc, s8, v4
	v_and_b32_e32 v1, 0xc0, v0
	s_nop 0
	v_subbrev_co_u32_e32 v3, vcc, 0, v5, vcc
	v_subrev_co_u32_e32 v4, vcc, s33, v8
	v_or_b32_e32 v30, 0x400, v1
	s_nop 0
	v_subbrev_co_u32_e32 v5, vcc, 0, v9, vcc
	v_lshlrev_b32_e32 v31, 2, v1
	s_waitcnt vmcnt(0)
	v_subrev_co_u32_e32 v6, vcc, s10, v12
	v_and_b32_e32 v8, 63, v0
	v_mov_b32_e32 v9, 0
	v_mbcnt_lo_u32_b32 v1, -1, 0
	v_subbrev_co_u32_e32 v7, vcc, 0, v13, vcc
	v_lshl_add_u64 v[12:13], v[18:19], 0, v[8:9]
	v_mbcnt_hi_u32_b32 v18, -1, v1
	v_and_b32_e32 v1, 64, v18
	v_cmp_lt_i64_e32 vcc, v[16:17], v[14:15]
	v_add_u32_e32 v19, 64, v1
	v_xor_b32_e32 v20, 32, v18
	v_cndmask_b32_e32 v17, v15, v17, vcc
	v_cndmask_b32_e32 v16, v14, v16, vcc
	v_cmp_lt_i32_e32 vcc, v20, v19
	s_mov_b32 s11, 0
	v_bitop3_b32 v0, v0, 63, v0 bitop3:0xc
	v_cndmask_b32_e32 v20, v18, v20, vcc
	v_lshlrev_b32_e32 v33, 2, v20
	v_xor_b32_e32 v20, 16, v18
	v_cmp_lt_i32_e32 vcc, v20, v19
	v_lshl_add_u64 v[10:11], v[10:11], 0, v[8:9]
	v_lshl_or_b32 v32, v8, 2, v31
	v_cndmask_b32_e32 v20, v18, v20, vcc
	v_lshlrev_b32_e32 v34, 2, v20
	v_xor_b32_e32 v20, 8, v18
	v_cmp_lt_i32_e32 vcc, v20, v19
	v_lshrrev_b64 v[0:1], v0, -1
	v_lshl_add_u64 v[14:15], s[10:11], 0, v[8:9]
	v_cndmask_b32_e32 v20, v18, v20, vcc
	v_lshlrev_b32_e32 v35, 2, v20
	v_xor_b32_e32 v20, 4, v18
	v_cmp_lt_i32_e32 vcc, v20, v19
	s_mov_b64 s[12:13], 0
	v_add_u32_e32 v39, v30, v8
	v_cndmask_b32_e32 v20, v18, v20, vcc
	v_lshlrev_b32_e32 v36, 2, v20
	v_xor_b32_e32 v20, 2, v18
	v_cmp_lt_i32_e32 vcc, v20, v19
	v_mov_b32_e32 v40, 1
	s_mov_b64 s[16:17], 0x200
	v_cndmask_b32_e32 v20, v18, v20, vcc
	v_lshlrev_b32_e32 v37, 2, v20
	v_xor_b32_e32 v20, 1, v18
	v_cmp_lt_i32_e32 vcc, v20, v19
	s_mov_b64 s[24:25], 0x100
	s_nop 0
	v_cndmask_b32_e32 v18, v18, v20, vcc
	v_lshlrev_b32_e32 v38, 2, v18
	s_branch .LBB5_13
.LBB5_12:                               ;   in Loop: Header=BB5_13 Depth=1
	s_or_b64 exec, exec, s[26:27]
	ds_bpermute_b32 v16, v33, v18
	ds_bpermute_b32 v17, v33, v19
	s_bcnt1_i32_b64 s10, vcc
	v_lshl_add_u64 v[6:7], s[10:11], 0, v[6:7]
	s_waitcnt lgkmcnt(0)
	v_cmp_lt_i64_e64 s[0:1], v[16:17], v[18:19]
	s_nop 1
	v_cndmask_b32_e64 v17, v19, v17, s[0:1]
	v_cndmask_b32_e64 v16, v18, v16, s[0:1]
	ds_bpermute_b32 v19, v34, v17
	ds_bpermute_b32 v18, v34, v16
	s_waitcnt lgkmcnt(0)
	v_cmp_lt_i64_e64 s[0:1], v[18:19], v[16:17]
	s_nop 1
	v_cndmask_b32_e64 v17, v17, v19, s[0:1]
	v_cndmask_b32_e64 v16, v16, v18, s[0:1]
	ds_bpermute_b32 v19, v35, v17
	ds_bpermute_b32 v18, v35, v16
	;; [unrolled: 7-line block ×5, first 2 shown]
	s_waitcnt lgkmcnt(0)
	v_cmp_lt_i64_e32 vcc, v[18:19], v[16:17]
	s_nop 1
	v_cndmask_b32_e32 v17, v17, v19, vcc
	v_cndmask_b32_e32 v16, v16, v18, vcc
	v_cmp_le_i64_e32 vcc, s[14:15], v[16:17]
	s_or_b64 s[12:13], vcc, s[12:13]
	s_andn2_b64 exec, exec, s[12:13]
	s_cbranch_execz .LBB5_35
.LBB5_13:                               ; =>This Loop Header: Depth=1
                                        ;     Child Loop BB5_16 Depth 2
                                        ;     Child Loop BB5_26 Depth 2
	v_cmp_lt_i64_e32 vcc, v[10:11], v[2:3]
	v_mov_b64_e32 v[18:19], s[14:15]
	ds_write_b8 v39, v9
	ds_write_b32 v32, v9
	s_waitcnt lgkmcnt(0)
	s_and_saveexec_b64 s[26:27], vcc
	s_cbranch_execz .LBB5_23
; %bb.14:                               ;   in Loop: Header=BB5_13 Depth=1
	v_lshl_add_u64 v[20:21], v[10:11], 3, s[6:7]
	v_lshl_add_u64 v[22:23], v[10:11], 2, s[4:5]
	s_mov_b64 s[28:29], 0
	v_mov_b64_e32 v[18:19], s[14:15]
	s_branch .LBB5_16
.LBB5_15:                               ;   in Loop: Header=BB5_16 Depth=2
	s_or_b64 exec, exec, s[30:31]
	s_and_b64 s[0:1], exec, s[0:1]
	s_or_b64 s[28:29], s[0:1], s[28:29]
	s_andn2_b64 exec, exec, s[28:29]
	s_cbranch_execz .LBB5_22
.LBB5_16:                               ;   Parent Loop BB5_13 Depth=1
                                        ; =>  This Inner Loop Header: Depth=2
	global_load_dwordx2 v[24:25], v[20:21], off
	s_waitcnt vmcnt(0)
	v_subrev_co_u32_e32 v26, vcc, s8, v24
	s_nop 1
	v_subbrev_co_u32_e32 v27, vcc, 0, v25, vcc
	v_sub_co_u32_e32 v24, vcc, v26, v16
	s_nop 1
	v_subb_co_u32_e32 v25, vcc, v27, v17, vcc
	v_cmp_gt_i64_e32 vcc, 64, v[24:25]
	v_cmp_lt_i64_e64 s[0:1], 63, v[24:25]
	s_and_saveexec_b64 s[30:31], s[0:1]
	s_xor_b64 s[30:31], exec, s[30:31]
	s_cbranch_execnz .LBB5_19
; %bb.17:                               ;   in Loop: Header=BB5_16 Depth=2
	s_andn2_saveexec_b64 s[0:1], s[30:31]
	s_cbranch_execnz .LBB5_20
.LBB5_18:                               ;   in Loop: Header=BB5_16 Depth=2
	s_or_b64 exec, exec, s[0:1]
	s_mov_b64 s[0:1], -1
	s_and_saveexec_b64 s[30:31], vcc
	s_cbranch_execz .LBB5_15
	s_branch .LBB5_21
.LBB5_19:                               ;   in Loop: Header=BB5_16 Depth=2
	v_cmp_lt_i64_e64 s[0:1], v[26:27], v[18:19]
                                        ; implicit-def: $vgpr24
	s_nop 1
	v_cndmask_b32_e64 v19, v19, v27, s[0:1]
	v_cndmask_b32_e64 v18, v18, v26, s[0:1]
	s_andn2_saveexec_b64 s[0:1], s[30:31]
	s_cbranch_execz .LBB5_18
.LBB5_20:                               ;   in Loop: Header=BB5_16 Depth=2
	global_load_dword v8, v[22:23], off
	v_add_u32_e32 v25, v30, v24
	v_lshl_add_u32 v24, v24, 2, v31
	ds_write_b8 v25, v40
	s_waitcnt vmcnt(0)
	v_mul_f32_e32 v8, v28, v8
	ds_write_b32 v24, v8
	s_or_b64 exec, exec, s[0:1]
	s_mov_b64 s[0:1], -1
	s_and_saveexec_b64 s[30:31], vcc
	s_cbranch_execz .LBB5_15
.LBB5_21:                               ;   in Loop: Header=BB5_16 Depth=2
	v_lshl_add_u64 v[10:11], v[10:11], 0, 64
	v_cmp_ge_i64_e32 vcc, v[10:11], v[2:3]
	v_lshl_add_u64 v[20:21], v[20:21], 0, s[16:17]
	v_lshl_add_u64 v[22:23], v[22:23], 0, s[24:25]
	s_orn2_b64 s[0:1], vcc, exec
	s_branch .LBB5_15
.LBB5_22:                               ;   in Loop: Header=BB5_13 Depth=1
	s_or_b64 exec, exec, s[28:29]
.LBB5_23:                               ;   in Loop: Header=BB5_13 Depth=1
	s_or_b64 exec, exec, s[26:27]
	v_cmp_lt_i64_e32 vcc, v[12:13], v[4:5]
	s_waitcnt lgkmcnt(0)
	s_and_saveexec_b64 s[26:27], vcc
	s_cbranch_execz .LBB5_33
; %bb.24:                               ;   in Loop: Header=BB5_13 Depth=1
	v_lshl_add_u64 v[20:21], v[12:13], 3, s[18:19]
	v_lshl_add_u64 v[22:23], v[12:13], 2, s[2:3]
	s_mov_b64 s[28:29], 0
	s_branch .LBB5_26
.LBB5_25:                               ;   in Loop: Header=BB5_26 Depth=2
	s_or_b64 exec, exec, s[30:31]
	s_and_b64 s[0:1], exec, s[0:1]
	s_or_b64 s[28:29], s[0:1], s[28:29]
	s_andn2_b64 exec, exec, s[28:29]
	s_cbranch_execz .LBB5_32
.LBB5_26:                               ;   Parent Loop BB5_13 Depth=1
                                        ; =>  This Inner Loop Header: Depth=2
	global_load_dwordx2 v[24:25], v[20:21], off
	s_waitcnt vmcnt(0)
	v_subrev_co_u32_e32 v26, vcc, s33, v24
	s_nop 1
	v_subbrev_co_u32_e32 v27, vcc, 0, v25, vcc
	v_sub_co_u32_e32 v24, vcc, v26, v16
	s_nop 1
	v_subb_co_u32_e32 v25, vcc, v27, v17, vcc
	v_cmp_gt_i64_e32 vcc, 64, v[24:25]
	v_cmp_lt_i64_e64 s[0:1], 63, v[24:25]
	s_and_saveexec_b64 s[30:31], s[0:1]
	s_xor_b64 s[30:31], exec, s[30:31]
	s_cbranch_execnz .LBB5_29
; %bb.27:                               ;   in Loop: Header=BB5_26 Depth=2
	s_andn2_saveexec_b64 s[0:1], s[30:31]
	s_cbranch_execnz .LBB5_30
.LBB5_28:                               ;   in Loop: Header=BB5_26 Depth=2
	s_or_b64 exec, exec, s[0:1]
	s_mov_b64 s[0:1], -1
	s_and_saveexec_b64 s[30:31], vcc
	s_cbranch_execz .LBB5_25
	s_branch .LBB5_31
.LBB5_29:                               ;   in Loop: Header=BB5_26 Depth=2
	v_cmp_lt_i64_e64 s[0:1], v[26:27], v[18:19]
                                        ; implicit-def: $vgpr24
	s_nop 1
	v_cndmask_b32_e64 v19, v19, v27, s[0:1]
	v_cndmask_b32_e64 v18, v18, v26, s[0:1]
	s_andn2_saveexec_b64 s[0:1], s[30:31]
	s_cbranch_execz .LBB5_28
.LBB5_30:                               ;   in Loop: Header=BB5_26 Depth=2
	global_load_dword v8, v[22:23], off
	v_lshl_add_u32 v25, v24, 2, v31
	ds_read_b32 v26, v25
	v_add_u32_e32 v24, v30, v24
	ds_write_b8 v24, v40
	s_waitcnt vmcnt(0) lgkmcnt(1)
	v_fmac_f32_e32 v26, v29, v8
	ds_write_b32 v25, v26
	s_or_b64 exec, exec, s[0:1]
	s_mov_b64 s[0:1], -1
	s_and_saveexec_b64 s[30:31], vcc
	s_cbranch_execz .LBB5_25
.LBB5_31:                               ;   in Loop: Header=BB5_26 Depth=2
	v_lshl_add_u64 v[12:13], v[12:13], 0, 64
	v_cmp_ge_i64_e32 vcc, v[12:13], v[4:5]
	v_lshl_add_u64 v[20:21], v[20:21], 0, s[16:17]
	v_lshl_add_u64 v[22:23], v[22:23], 0, s[24:25]
	s_orn2_b64 s[0:1], vcc, exec
	s_branch .LBB5_25
.LBB5_32:                               ;   in Loop: Header=BB5_13 Depth=1
	s_or_b64 exec, exec, s[28:29]
.LBB5_33:                               ;   in Loop: Header=BB5_13 Depth=1
	s_or_b64 exec, exec, s[26:27]
	s_waitcnt lgkmcnt(0)
	ds_read_u8 v8, v39
	s_waitcnt lgkmcnt(0)
	v_and_b32_e32 v20, 1, v8
	v_cmp_eq_u32_e64 s[0:1], 1, v20
	v_cmp_ne_u16_e32 vcc, 0, v8
	s_and_saveexec_b64 s[26:27], s[0:1]
	s_cbranch_execz .LBB5_12
; %bb.34:                               ;   in Loop: Header=BB5_13 Depth=1
	v_and_b32_e32 v20, vcc_lo, v0
	v_and_b32_e32 v8, vcc_hi, v1
	v_bcnt_u32_b32 v20, v20, 0
	ds_read_b32 v24, v32
	v_bcnt_u32_b32 v8, v8, v20
	v_lshl_add_u64 v[20:21], v[6:7], 0, v[8:9]
	v_lshl_add_u64 v[16:17], v[14:15], 0, v[16:17]
	;; [unrolled: 1-line block ×3, first 2 shown]
	global_store_dwordx2 v[22:23], v[16:17], off offset:-8
	v_lshl_add_u64 v[16:17], v[20:21], 2, s[22:23]
	s_waitcnt lgkmcnt(0)
	global_store_dword v[16:17], v24, off offset:-4
	s_branch .LBB5_12
.LBB5_35:
	s_endpgm
	.section	.rodata,"a",@progbits
	.p2align	6, 0x0
	.amdhsa_kernel _ZN9rocsparseL29csrgeam_fill_multipass_kernelILj256ELj64EllfEEvllNS_24const_host_device_scalarIT3_EEPKT1_PKT2_PKS2_S3_S6_S9_SB_S6_PS7_PS2_21rocsparse_index_base_SE_SE_bbb
		.amdhsa_group_segment_fixed_size 1280
		.amdhsa_private_segment_fixed_size 0
		.amdhsa_kernarg_size 120
		.amdhsa_user_sgpr_count 2
		.amdhsa_user_sgpr_dispatch_ptr 0
		.amdhsa_user_sgpr_queue_ptr 0
		.amdhsa_user_sgpr_kernarg_segment_ptr 1
		.amdhsa_user_sgpr_dispatch_id 0
		.amdhsa_user_sgpr_kernarg_preload_length 0
		.amdhsa_user_sgpr_kernarg_preload_offset 0
		.amdhsa_user_sgpr_private_segment_size 0
		.amdhsa_uses_dynamic_stack 0
		.amdhsa_enable_private_segment 0
		.amdhsa_system_sgpr_workgroup_id_x 1
		.amdhsa_system_sgpr_workgroup_id_y 0
		.amdhsa_system_sgpr_workgroup_id_z 0
		.amdhsa_system_sgpr_workgroup_info 0
		.amdhsa_system_vgpr_workitem_id 0
		.amdhsa_next_free_vgpr 41
		.amdhsa_next_free_sgpr 34
		.amdhsa_accum_offset 44
		.amdhsa_reserve_vcc 1
		.amdhsa_float_round_mode_32 0
		.amdhsa_float_round_mode_16_64 0
		.amdhsa_float_denorm_mode_32 3
		.amdhsa_float_denorm_mode_16_64 3
		.amdhsa_dx10_clamp 1
		.amdhsa_ieee_mode 1
		.amdhsa_fp16_overflow 0
		.amdhsa_tg_split 0
		.amdhsa_exception_fp_ieee_invalid_op 0
		.amdhsa_exception_fp_denorm_src 0
		.amdhsa_exception_fp_ieee_div_zero 0
		.amdhsa_exception_fp_ieee_overflow 0
		.amdhsa_exception_fp_ieee_underflow 0
		.amdhsa_exception_fp_ieee_inexact 0
		.amdhsa_exception_int_div_zero 0
	.end_amdhsa_kernel
	.section	.text._ZN9rocsparseL29csrgeam_fill_multipass_kernelILj256ELj64EllfEEvllNS_24const_host_device_scalarIT3_EEPKT1_PKT2_PKS2_S3_S6_S9_SB_S6_PS7_PS2_21rocsparse_index_base_SE_SE_bbb,"axG",@progbits,_ZN9rocsparseL29csrgeam_fill_multipass_kernelILj256ELj64EllfEEvllNS_24const_host_device_scalarIT3_EEPKT1_PKT2_PKS2_S3_S6_S9_SB_S6_PS7_PS2_21rocsparse_index_base_SE_SE_bbb,comdat
.Lfunc_end5:
	.size	_ZN9rocsparseL29csrgeam_fill_multipass_kernelILj256ELj64EllfEEvllNS_24const_host_device_scalarIT3_EEPKT1_PKT2_PKS2_S3_S6_S9_SB_S6_PS7_PS2_21rocsparse_index_base_SE_SE_bbb, .Lfunc_end5-_ZN9rocsparseL29csrgeam_fill_multipass_kernelILj256ELj64EllfEEvllNS_24const_host_device_scalarIT3_EEPKT1_PKT2_PKS2_S3_S6_S9_SB_S6_PS7_PS2_21rocsparse_index_base_SE_SE_bbb
                                        ; -- End function
	.set _ZN9rocsparseL29csrgeam_fill_multipass_kernelILj256ELj64EllfEEvllNS_24const_host_device_scalarIT3_EEPKT1_PKT2_PKS2_S3_S6_S9_SB_S6_PS7_PS2_21rocsparse_index_base_SE_SE_bbb.num_vgpr, 41
	.set _ZN9rocsparseL29csrgeam_fill_multipass_kernelILj256ELj64EllfEEvllNS_24const_host_device_scalarIT3_EEPKT1_PKT2_PKS2_S3_S6_S9_SB_S6_PS7_PS2_21rocsparse_index_base_SE_SE_bbb.num_agpr, 0
	.set _ZN9rocsparseL29csrgeam_fill_multipass_kernelILj256ELj64EllfEEvllNS_24const_host_device_scalarIT3_EEPKT1_PKT2_PKS2_S3_S6_S9_SB_S6_PS7_PS2_21rocsparse_index_base_SE_SE_bbb.numbered_sgpr, 34
	.set _ZN9rocsparseL29csrgeam_fill_multipass_kernelILj256ELj64EllfEEvllNS_24const_host_device_scalarIT3_EEPKT1_PKT2_PKS2_S3_S6_S9_SB_S6_PS7_PS2_21rocsparse_index_base_SE_SE_bbb.num_named_barrier, 0
	.set _ZN9rocsparseL29csrgeam_fill_multipass_kernelILj256ELj64EllfEEvllNS_24const_host_device_scalarIT3_EEPKT1_PKT2_PKS2_S3_S6_S9_SB_S6_PS7_PS2_21rocsparse_index_base_SE_SE_bbb.private_seg_size, 0
	.set _ZN9rocsparseL29csrgeam_fill_multipass_kernelILj256ELj64EllfEEvllNS_24const_host_device_scalarIT3_EEPKT1_PKT2_PKS2_S3_S6_S9_SB_S6_PS7_PS2_21rocsparse_index_base_SE_SE_bbb.uses_vcc, 1
	.set _ZN9rocsparseL29csrgeam_fill_multipass_kernelILj256ELj64EllfEEvllNS_24const_host_device_scalarIT3_EEPKT1_PKT2_PKS2_S3_S6_S9_SB_S6_PS7_PS2_21rocsparse_index_base_SE_SE_bbb.uses_flat_scratch, 0
	.set _ZN9rocsparseL29csrgeam_fill_multipass_kernelILj256ELj64EllfEEvllNS_24const_host_device_scalarIT3_EEPKT1_PKT2_PKS2_S3_S6_S9_SB_S6_PS7_PS2_21rocsparse_index_base_SE_SE_bbb.has_dyn_sized_stack, 0
	.set _ZN9rocsparseL29csrgeam_fill_multipass_kernelILj256ELj64EllfEEvllNS_24const_host_device_scalarIT3_EEPKT1_PKT2_PKS2_S3_S6_S9_SB_S6_PS7_PS2_21rocsparse_index_base_SE_SE_bbb.has_recursion, 0
	.set _ZN9rocsparseL29csrgeam_fill_multipass_kernelILj256ELj64EllfEEvllNS_24const_host_device_scalarIT3_EEPKT1_PKT2_PKS2_S3_S6_S9_SB_S6_PS7_PS2_21rocsparse_index_base_SE_SE_bbb.has_indirect_call, 0
	.section	.AMDGPU.csdata,"",@progbits
; Kernel info:
; codeLenInByte = 1752
; TotalNumSgprs: 40
; NumVgprs: 41
; NumAgprs: 0
; TotalNumVgprs: 41
; ScratchSize: 0
; MemoryBound: 0
; FloatMode: 240
; IeeeMode: 1
; LDSByteSize: 1280 bytes/workgroup (compile time only)
; SGPRBlocks: 4
; VGPRBlocks: 5
; NumSGPRsForWavesPerEU: 40
; NumVGPRsForWavesPerEU: 41
; AccumOffset: 44
; Occupancy: 8
; WaveLimiterHint : 1
; COMPUTE_PGM_RSRC2:SCRATCH_EN: 0
; COMPUTE_PGM_RSRC2:USER_SGPR: 2
; COMPUTE_PGM_RSRC2:TRAP_HANDLER: 0
; COMPUTE_PGM_RSRC2:TGID_X_EN: 1
; COMPUTE_PGM_RSRC2:TGID_Y_EN: 0
; COMPUTE_PGM_RSRC2:TGID_Z_EN: 0
; COMPUTE_PGM_RSRC2:TIDIG_COMP_CNT: 0
; COMPUTE_PGM_RSRC3_GFX90A:ACCUM_OFFSET: 10
; COMPUTE_PGM_RSRC3_GFX90A:TG_SPLIT: 0
	.section	.text._ZN9rocsparseL29csrgeam_fill_multipass_kernelILj256ELj32EiidEEvllNS_24const_host_device_scalarIT3_EEPKT1_PKT2_PKS2_S3_S6_S9_SB_S6_PS7_PS2_21rocsparse_index_base_SE_SE_bbb,"axG",@progbits,_ZN9rocsparseL29csrgeam_fill_multipass_kernelILj256ELj32EiidEEvllNS_24const_host_device_scalarIT3_EEPKT1_PKT2_PKS2_S3_S6_S9_SB_S6_PS7_PS2_21rocsparse_index_base_SE_SE_bbb,comdat
	.globl	_ZN9rocsparseL29csrgeam_fill_multipass_kernelILj256ELj32EiidEEvllNS_24const_host_device_scalarIT3_EEPKT1_PKT2_PKS2_S3_S6_S9_SB_S6_PS7_PS2_21rocsparse_index_base_SE_SE_bbb ; -- Begin function _ZN9rocsparseL29csrgeam_fill_multipass_kernelILj256ELj32EiidEEvllNS_24const_host_device_scalarIT3_EEPKT1_PKT2_PKS2_S3_S6_S9_SB_S6_PS7_PS2_21rocsparse_index_base_SE_SE_bbb
	.p2align	8
	.type	_ZN9rocsparseL29csrgeam_fill_multipass_kernelILj256ELj32EiidEEvllNS_24const_host_device_scalarIT3_EEPKT1_PKT2_PKS2_S3_S6_S9_SB_S6_PS7_PS2_21rocsparse_index_base_SE_SE_bbb,@function
_ZN9rocsparseL29csrgeam_fill_multipass_kernelILj256ELj32EiidEEvllNS_24const_host_device_scalarIT3_EEPKT1_PKT2_PKS2_S3_S6_S9_SB_S6_PS7_PS2_21rocsparse_index_base_SE_SE_bbb: ; @_ZN9rocsparseL29csrgeam_fill_multipass_kernelILj256ELj32EiidEEvllNS_24const_host_device_scalarIT3_EEPKT1_PKT2_PKS2_S3_S6_S9_SB_S6_PS7_PS2_21rocsparse_index_base_SE_SE_bbb
; %bb.0:
	s_load_dwordx4 s[4:7], s[0:1], 0x68
	s_load_dwordx2 s[12:13], s[0:1], 0x30
	s_load_dword s3, s[0:1], 0x74
	s_load_dwordx4 s[8:11], s[0:1], 0x0
	s_load_dwordx2 s[16:17], s[0:1], 0x10
	s_waitcnt lgkmcnt(0)
	s_bitcmp1_b32 s7, 0
	s_cselect_b64 s[18:19], -1, 0
	s_bitcmp1_b32 s3, 16
	s_cselect_b64 s[14:15], -1, 0
	s_xor_b64 s[20:21], s[18:19], -1
	s_or_b64 s[20:21], s[14:15], s[20:21]
	s_and_b64 s[18:19], s[18:19], exec
	s_cselect_b32 s19, s17, 0
	s_cselect_b32 s18, s16, 0
	s_and_b64 vcc, exec, s[20:21]
	v_mov_b64_e32 v[2:3], s[18:19]
	s_cbranch_vccnz .LBB6_2
; %bb.1:
	v_mov_b64_e32 v[2:3], s[16:17]
	flat_load_dwordx2 v[2:3], v[2:3]
.LBB6_2:
	s_bitcmp1_b32 s3, 8
	s_cselect_b64 s[16:17], -1, 0
	s_xor_b64 s[18:19], s[16:17], -1
	s_or_b64 s[14:15], s[14:15], s[18:19]
	s_and_b64 s[16:17], s[16:17], exec
	s_cselect_b32 s17, s13, 0
	s_cselect_b32 s16, s12, 0
	s_and_b64 vcc, exec, s[14:15]
	v_mov_b64_e32 v[4:5], s[16:17]
	s_cbranch_vccnz .LBB6_4
; %bb.3:
	v_mov_b64_e32 v[4:5], s[12:13]
	flat_load_dwordx2 v[4:5], v[4:5]
.LBB6_4:
	s_lshl_b32 s2, s2, 3
	v_lshrrev_b32_e32 v1, 5, v0
	s_and_b32 s2, s2, 0x7fffff8
	v_or_b32_e32 v6, s2, v1
	v_mov_b32_e32 v7, 0
	v_cmp_gt_i64_e32 vcc, s[8:9], v[6:7]
	s_and_saveexec_b64 s[2:3], vcc
	s_cbranch_execz .LBB6_35
; %bb.5:
	s_load_dwordx4 s[12:15], s[0:1], 0x18
	s_load_dwordx2 s[2:3], s[0:1], 0x38
	s_load_dwordx2 s[8:9], s[0:1], 0x50
	v_lshlrev_b32_e32 v10, 2, v6
	s_waitcnt lgkmcnt(0)
	global_load_dwordx2 v[8:9], v10, s[12:13]
	global_load_dwordx2 v[6:7], v10, s[2:3]
	global_load_dword v1, v10, s[8:9]
	s_waitcnt vmcnt(0)
	v_cmp_ge_i32_e32 vcc, v8, v9
	s_and_saveexec_b64 s[2:3], vcc
	s_xor_b64 s[2:3], exec, s[2:3]
	s_or_saveexec_b64 s[2:3], s[2:3]
	v_subrev_u32_e32 v12, s4, v8
	v_mov_b32_e32 v8, s10
	s_xor_b64 exec, exec, s[2:3]
	s_cbranch_execz .LBB6_7
; %bb.6:
	v_ashrrev_i32_e32 v13, 31, v12
	v_lshl_add_u64 v[10:11], v[12:13], 2, s[14:15]
	global_load_dword v8, v[10:11], off
	s_waitcnt vmcnt(0)
	v_subrev_u32_e32 v8, s4, v8
.LBB6_7:
	s_or_b64 exec, exec, s[2:3]
	s_load_dwordx2 s[2:3], s[0:1], 0x40
	v_cmp_ge_i32_e32 vcc, v6, v7
	v_mov_b32_e32 v27, s10
	s_and_saveexec_b64 s[8:9], vcc
	s_xor_b64 s[8:9], exec, s[8:9]
; %bb.8:
	v_mov_b32_e32 v27, s10
; %bb.9:
	s_or_saveexec_b64 s[20:21], s[8:9]
	s_load_dwordx4 s[16:19], s[0:1], 0x58
	s_load_dwordx2 s[8:9], s[0:1], 0x48
	s_load_dwordx2 s[12:13], s[0:1], 0x28
	v_subrev_u32_e32 v14, s5, v6
	v_mov_b32_e32 v6, v27
	s_xor_b64 exec, exec, s[20:21]
	s_cbranch_execz .LBB6_11
; %bb.10:
	v_ashrrev_i32_e32 v15, 31, v14
	s_waitcnt lgkmcnt(0)
	v_lshl_add_u64 v[10:11], v[14:15], 2, s[2:3]
	global_load_dword v6, v[10:11], off
	s_waitcnt vmcnt(0)
	v_subrev_u32_e32 v6, s5, v6
.LBB6_11:
	s_or_b64 exec, exec, s[20:21]
	v_subrev_u32_e32 v16, s4, v9
	v_mbcnt_lo_u32_b32 v9, -1, 0
	v_mbcnt_hi_u32_b32 v9, -1, v9
	v_and_b32_e32 v10, 0xe0, v0
	v_subrev_u32_e32 v17, s5, v7
	v_and_b32_e32 v7, 31, v0
	v_and_b32_e32 v11, 64, v9
	v_bitop3_b32 v0, v0, 31, v0 bitop3:0xc
	v_or_b32_e32 v13, 0x800, v10
	v_lshlrev_b32_e32 v15, 3, v10
	v_min_i32_e32 v10, v6, v8
	v_add_u32_e32 v8, v14, v7
	v_add_u32_e32 v11, 64, v11
	v_lshrrev_b32_e64 v14, v0, -1
	v_xor_b32_e32 v0, 16, v9
	v_cmp_lt_i32_e32 vcc, v0, v11
	v_subrev_u32_e32 v18, s6, v1
	v_mov_b32_e32 v1, 0
	v_cndmask_b32_e32 v0, v9, v0, vcc
	v_lshlrev_b32_e32 v20, 2, v0
	v_xor_b32_e32 v0, 8, v9
	v_cmp_lt_i32_e32 vcc, v0, v11
	v_add_u32_e32 v6, v12, v7
	v_lshl_or_b32 v12, v7, 3, v15
	v_cndmask_b32_e32 v0, v9, v0, vcc
	v_lshlrev_b32_e32 v21, 2, v0
	v_xor_b32_e32 v0, 4, v9
	v_cmp_lt_i32_e32 vcc, v0, v11
	v_add_u32_e32 v19, s6, v7
	s_mov_b64 s[6:7], 0
	v_cndmask_b32_e32 v0, v9, v0, vcc
	v_lshlrev_b32_e32 v22, 2, v0
	v_xor_b32_e32 v0, 2, v9
	v_cmp_lt_i32_e32 vcc, v0, v11
	v_add_u32_e32 v25, v13, v7
	v_mov_b32_e32 v28, v1
	v_cndmask_b32_e32 v0, v9, v0, vcc
	v_lshlrev_b32_e32 v23, 2, v0
	v_xor_b32_e32 v0, 1, v9
	v_cmp_lt_i32_e32 vcc, v0, v11
	v_mov_b32_e32 v29, v1
	v_mov_b32_e32 v26, 1
	v_cndmask_b32_e32 v0, v9, v0, vcc
	v_lshlrev_b32_e32 v24, 2, v0
	s_branch .LBB6_13
.LBB6_12:                               ;   in Loop: Header=BB6_13 Depth=1
	s_or_b64 exec, exec, s[20:21]
	ds_bpermute_b32 v0, v20, v11
	s_bcnt1_i32_b64 s0, vcc
	v_add_u32_e32 v18, s0, v18
	s_waitcnt lgkmcnt(0)
	v_min_i32_e32 v0, v0, v11
	ds_bpermute_b32 v7, v21, v0
	s_waitcnt lgkmcnt(0)
	v_min_i32_e32 v0, v7, v0
	ds_bpermute_b32 v7, v22, v0
	;; [unrolled: 3-line block ×4, first 2 shown]
	s_waitcnt lgkmcnt(0)
	v_min_i32_e32 v10, v7, v0
	v_ashrrev_i32_e32 v11, 31, v10
	v_cmp_le_i64_e32 vcc, s[10:11], v[10:11]
	s_or_b64 s[6:7], vcc, s[6:7]
	s_andn2_b64 exec, exec, s[6:7]
	s_cbranch_execz .LBB6_35
.LBB6_13:                               ; =>This Loop Header: Depth=1
                                        ;     Child Loop BB6_16 Depth 2
                                        ;     Child Loop BB6_26 Depth 2
	v_cmp_lt_i32_e32 vcc, v6, v16
	v_mov_b32_e32 v11, v27
	ds_write_b8 v25, v1
	ds_write_b64 v12, v[28:29]
	s_waitcnt lgkmcnt(0)
	s_and_saveexec_b64 s[20:21], vcc
	s_cbranch_execz .LBB6_23
; %bb.14:                               ;   in Loop: Header=BB6_13 Depth=1
	s_mov_b64 s[22:23], 0
	v_mov_b32_e32 v11, v27
	s_branch .LBB6_16
.LBB6_15:                               ;   in Loop: Header=BB6_16 Depth=2
	s_or_b64 exec, exec, s[24:25]
	s_and_b64 s[0:1], exec, s[0:1]
	s_or_b64 s[22:23], s[0:1], s[22:23]
	s_andn2_b64 exec, exec, s[22:23]
	s_cbranch_execz .LBB6_22
.LBB6_16:                               ;   Parent Loop BB6_13 Depth=1
                                        ; =>  This Inner Loop Header: Depth=2
	v_ashrrev_i32_e32 v7, 31, v6
	v_lshl_add_u64 v[30:31], v[6:7], 2, s[14:15]
	global_load_dword v0, v[30:31], off
	s_waitcnt vmcnt(0)
	v_subrev_u32_e32 v9, s4, v0
	v_sub_u32_e32 v0, v9, v10
	v_cmp_gt_u32_e32 vcc, 32, v0
	v_cmp_lt_u32_e64 s[0:1], 31, v0
	s_and_saveexec_b64 s[24:25], s[0:1]
	s_xor_b64 s[0:1], exec, s[24:25]
	s_cbranch_execnz .LBB6_19
; %bb.17:                               ;   in Loop: Header=BB6_16 Depth=2
	s_andn2_saveexec_b64 s[0:1], s[0:1]
	s_cbranch_execnz .LBB6_20
.LBB6_18:                               ;   in Loop: Header=BB6_16 Depth=2
	s_or_b64 exec, exec, s[0:1]
	s_mov_b64 s[0:1], -1
	s_and_saveexec_b64 s[24:25], vcc
	s_cbranch_execz .LBB6_15
	s_branch .LBB6_21
.LBB6_19:                               ;   in Loop: Header=BB6_16 Depth=2
	v_min_i32_e32 v11, v9, v11
                                        ; implicit-def: $vgpr0
	s_andn2_saveexec_b64 s[0:1], s[0:1]
	s_cbranch_execz .LBB6_18
.LBB6_20:                               ;   in Loop: Header=BB6_16 Depth=2
	v_lshl_add_u64 v[30:31], v[6:7], 3, s[12:13]
	global_load_dwordx2 v[30:31], v[30:31], off
	v_add_u32_e32 v7, v13, v0
	v_lshl_add_u32 v0, v0, 3, v15
	ds_write_b8 v7, v26
	s_waitcnt vmcnt(0)
	v_mul_f64 v[30:31], v[2:3], v[30:31]
	ds_write_b64 v0, v[30:31]
	s_or_b64 exec, exec, s[0:1]
	s_mov_b64 s[0:1], -1
	s_and_saveexec_b64 s[24:25], vcc
	s_cbranch_execz .LBB6_15
.LBB6_21:                               ;   in Loop: Header=BB6_16 Depth=2
	v_add_u32_e32 v6, 32, v6
	v_cmp_ge_i32_e32 vcc, v6, v16
	s_orn2_b64 s[0:1], vcc, exec
	s_branch .LBB6_15
.LBB6_22:                               ;   in Loop: Header=BB6_13 Depth=1
	s_or_b64 exec, exec, s[22:23]
.LBB6_23:                               ;   in Loop: Header=BB6_13 Depth=1
	s_or_b64 exec, exec, s[20:21]
	v_cmp_lt_i32_e32 vcc, v8, v17
	s_waitcnt lgkmcnt(0)
	s_and_saveexec_b64 s[20:21], vcc
	s_cbranch_execz .LBB6_33
; %bb.24:                               ;   in Loop: Header=BB6_13 Depth=1
	s_mov_b64 s[22:23], 0
	s_branch .LBB6_26
.LBB6_25:                               ;   in Loop: Header=BB6_26 Depth=2
	s_or_b64 exec, exec, s[24:25]
	s_and_b64 s[0:1], exec, s[0:1]
	s_or_b64 s[22:23], s[0:1], s[22:23]
	s_andn2_b64 exec, exec, s[22:23]
	s_cbranch_execz .LBB6_32
.LBB6_26:                               ;   Parent Loop BB6_13 Depth=1
                                        ; =>  This Inner Loop Header: Depth=2
	v_ashrrev_i32_e32 v9, 31, v8
	v_lshl_add_u64 v[30:31], v[8:9], 2, s[2:3]
	global_load_dword v0, v[30:31], off
	s_waitcnt vmcnt(0)
	v_subrev_u32_e32 v7, s5, v0
	v_sub_u32_e32 v0, v7, v10
	v_cmp_gt_u32_e32 vcc, 32, v0
	v_cmp_lt_u32_e64 s[0:1], 31, v0
	s_and_saveexec_b64 s[24:25], s[0:1]
	s_xor_b64 s[0:1], exec, s[24:25]
	s_cbranch_execnz .LBB6_29
; %bb.27:                               ;   in Loop: Header=BB6_26 Depth=2
	s_andn2_saveexec_b64 s[0:1], s[0:1]
	s_cbranch_execnz .LBB6_30
.LBB6_28:                               ;   in Loop: Header=BB6_26 Depth=2
	s_or_b64 exec, exec, s[0:1]
	s_mov_b64 s[0:1], -1
	s_and_saveexec_b64 s[24:25], vcc
	s_cbranch_execz .LBB6_25
	s_branch .LBB6_31
.LBB6_29:                               ;   in Loop: Header=BB6_26 Depth=2
	v_min_i32_e32 v11, v7, v11
                                        ; implicit-def: $vgpr0
	s_andn2_saveexec_b64 s[0:1], s[0:1]
	s_cbranch_execz .LBB6_28
.LBB6_30:                               ;   in Loop: Header=BB6_26 Depth=2
	v_lshl_add_u64 v[30:31], v[8:9], 3, s[8:9]
	global_load_dwordx2 v[30:31], v[30:31], off
	v_lshl_add_u32 v7, v0, 3, v15
	ds_read_b64 v[32:33], v7
	v_add_u32_e32 v0, v13, v0
	ds_write_b8 v0, v26
	s_waitcnt vmcnt(0) lgkmcnt(1)
	v_fmac_f64_e32 v[32:33], v[4:5], v[30:31]
	ds_write_b64 v7, v[32:33]
	s_or_b64 exec, exec, s[0:1]
	s_mov_b64 s[0:1], -1
	s_and_saveexec_b64 s[24:25], vcc
	s_cbranch_execz .LBB6_25
.LBB6_31:                               ;   in Loop: Header=BB6_26 Depth=2
	v_add_u32_e32 v8, 32, v8
	v_cmp_ge_i32_e32 vcc, v8, v17
	s_orn2_b64 s[0:1], vcc, exec
	s_branch .LBB6_25
.LBB6_32:                               ;   in Loop: Header=BB6_13 Depth=1
	s_or_b64 exec, exec, s[22:23]
.LBB6_33:                               ;   in Loop: Header=BB6_13 Depth=1
	s_or_b64 exec, exec, s[20:21]
	s_waitcnt lgkmcnt(0)
	ds_read_u8 v0, v25
	s_waitcnt lgkmcnt(0)
	v_and_b32_e32 v7, 1, v0
	v_cmp_eq_u32_e64 s[0:1], 1, v7
	v_cmp_ne_u16_e32 vcc, 0, v0
	s_and_saveexec_b64 s[20:21], s[0:1]
	s_cbranch_execz .LBB6_12
; %bb.34:                               ;   in Loop: Header=BB6_13 Depth=1
	v_and_b32_e32 v0, vcc_lo, v14
	ds_read_b64 v[30:31], v12
	v_bcnt_u32_b32 v0, v0, 0
	v_add3_u32 v0, v18, v0, -1
	v_lshl_add_u64 v[32:33], v[0:1], 3, s[18:19]
	v_lshl_add_u64 v[34:35], v[0:1], 2, s[16:17]
	v_add_u32_e32 v0, v19, v10
	global_store_dword v[34:35], v0, off
	s_waitcnt lgkmcnt(0)
	global_store_dwordx2 v[32:33], v[30:31], off
	s_branch .LBB6_12
.LBB6_35:
	s_endpgm
	.section	.rodata,"a",@progbits
	.p2align	6, 0x0
	.amdhsa_kernel _ZN9rocsparseL29csrgeam_fill_multipass_kernelILj256ELj32EiidEEvllNS_24const_host_device_scalarIT3_EEPKT1_PKT2_PKS2_S3_S6_S9_SB_S6_PS7_PS2_21rocsparse_index_base_SE_SE_bbb
		.amdhsa_group_segment_fixed_size 2304
		.amdhsa_private_segment_fixed_size 0
		.amdhsa_kernarg_size 120
		.amdhsa_user_sgpr_count 2
		.amdhsa_user_sgpr_dispatch_ptr 0
		.amdhsa_user_sgpr_queue_ptr 0
		.amdhsa_user_sgpr_kernarg_segment_ptr 1
		.amdhsa_user_sgpr_dispatch_id 0
		.amdhsa_user_sgpr_kernarg_preload_length 0
		.amdhsa_user_sgpr_kernarg_preload_offset 0
		.amdhsa_user_sgpr_private_segment_size 0
		.amdhsa_uses_dynamic_stack 0
		.amdhsa_enable_private_segment 0
		.amdhsa_system_sgpr_workgroup_id_x 1
		.amdhsa_system_sgpr_workgroup_id_y 0
		.amdhsa_system_sgpr_workgroup_id_z 0
		.amdhsa_system_sgpr_workgroup_info 0
		.amdhsa_system_vgpr_workitem_id 0
		.amdhsa_next_free_vgpr 36
		.amdhsa_next_free_sgpr 26
		.amdhsa_accum_offset 36
		.amdhsa_reserve_vcc 1
		.amdhsa_float_round_mode_32 0
		.amdhsa_float_round_mode_16_64 0
		.amdhsa_float_denorm_mode_32 3
		.amdhsa_float_denorm_mode_16_64 3
		.amdhsa_dx10_clamp 1
		.amdhsa_ieee_mode 1
		.amdhsa_fp16_overflow 0
		.amdhsa_tg_split 0
		.amdhsa_exception_fp_ieee_invalid_op 0
		.amdhsa_exception_fp_denorm_src 0
		.amdhsa_exception_fp_ieee_div_zero 0
		.amdhsa_exception_fp_ieee_overflow 0
		.amdhsa_exception_fp_ieee_underflow 0
		.amdhsa_exception_fp_ieee_inexact 0
		.amdhsa_exception_int_div_zero 0
	.end_amdhsa_kernel
	.section	.text._ZN9rocsparseL29csrgeam_fill_multipass_kernelILj256ELj32EiidEEvllNS_24const_host_device_scalarIT3_EEPKT1_PKT2_PKS2_S3_S6_S9_SB_S6_PS7_PS2_21rocsparse_index_base_SE_SE_bbb,"axG",@progbits,_ZN9rocsparseL29csrgeam_fill_multipass_kernelILj256ELj32EiidEEvllNS_24const_host_device_scalarIT3_EEPKT1_PKT2_PKS2_S3_S6_S9_SB_S6_PS7_PS2_21rocsparse_index_base_SE_SE_bbb,comdat
.Lfunc_end6:
	.size	_ZN9rocsparseL29csrgeam_fill_multipass_kernelILj256ELj32EiidEEvllNS_24const_host_device_scalarIT3_EEPKT1_PKT2_PKS2_S3_S6_S9_SB_S6_PS7_PS2_21rocsparse_index_base_SE_SE_bbb, .Lfunc_end6-_ZN9rocsparseL29csrgeam_fill_multipass_kernelILj256ELj32EiidEEvllNS_24const_host_device_scalarIT3_EEPKT1_PKT2_PKS2_S3_S6_S9_SB_S6_PS7_PS2_21rocsparse_index_base_SE_SE_bbb
                                        ; -- End function
	.set _ZN9rocsparseL29csrgeam_fill_multipass_kernelILj256ELj32EiidEEvllNS_24const_host_device_scalarIT3_EEPKT1_PKT2_PKS2_S3_S6_S9_SB_S6_PS7_PS2_21rocsparse_index_base_SE_SE_bbb.num_vgpr, 36
	.set _ZN9rocsparseL29csrgeam_fill_multipass_kernelILj256ELj32EiidEEvllNS_24const_host_device_scalarIT3_EEPKT1_PKT2_PKS2_S3_S6_S9_SB_S6_PS7_PS2_21rocsparse_index_base_SE_SE_bbb.num_agpr, 0
	.set _ZN9rocsparseL29csrgeam_fill_multipass_kernelILj256ELj32EiidEEvllNS_24const_host_device_scalarIT3_EEPKT1_PKT2_PKS2_S3_S6_S9_SB_S6_PS7_PS2_21rocsparse_index_base_SE_SE_bbb.numbered_sgpr, 26
	.set _ZN9rocsparseL29csrgeam_fill_multipass_kernelILj256ELj32EiidEEvllNS_24const_host_device_scalarIT3_EEPKT1_PKT2_PKS2_S3_S6_S9_SB_S6_PS7_PS2_21rocsparse_index_base_SE_SE_bbb.num_named_barrier, 0
	.set _ZN9rocsparseL29csrgeam_fill_multipass_kernelILj256ELj32EiidEEvllNS_24const_host_device_scalarIT3_EEPKT1_PKT2_PKS2_S3_S6_S9_SB_S6_PS7_PS2_21rocsparse_index_base_SE_SE_bbb.private_seg_size, 0
	.set _ZN9rocsparseL29csrgeam_fill_multipass_kernelILj256ELj32EiidEEvllNS_24const_host_device_scalarIT3_EEPKT1_PKT2_PKS2_S3_S6_S9_SB_S6_PS7_PS2_21rocsparse_index_base_SE_SE_bbb.uses_vcc, 1
	.set _ZN9rocsparseL29csrgeam_fill_multipass_kernelILj256ELj32EiidEEvllNS_24const_host_device_scalarIT3_EEPKT1_PKT2_PKS2_S3_S6_S9_SB_S6_PS7_PS2_21rocsparse_index_base_SE_SE_bbb.uses_flat_scratch, 0
	.set _ZN9rocsparseL29csrgeam_fill_multipass_kernelILj256ELj32EiidEEvllNS_24const_host_device_scalarIT3_EEPKT1_PKT2_PKS2_S3_S6_S9_SB_S6_PS7_PS2_21rocsparse_index_base_SE_SE_bbb.has_dyn_sized_stack, 0
	.set _ZN9rocsparseL29csrgeam_fill_multipass_kernelILj256ELj32EiidEEvllNS_24const_host_device_scalarIT3_EEPKT1_PKT2_PKS2_S3_S6_S9_SB_S6_PS7_PS2_21rocsparse_index_base_SE_SE_bbb.has_recursion, 0
	.set _ZN9rocsparseL29csrgeam_fill_multipass_kernelILj256ELj32EiidEEvllNS_24const_host_device_scalarIT3_EEPKT1_PKT2_PKS2_S3_S6_S9_SB_S6_PS7_PS2_21rocsparse_index_base_SE_SE_bbb.has_indirect_call, 0
	.section	.AMDGPU.csdata,"",@progbits
; Kernel info:
; codeLenInByte = 1360
; TotalNumSgprs: 32
; NumVgprs: 36
; NumAgprs: 0
; TotalNumVgprs: 36
; ScratchSize: 0
; MemoryBound: 0
; FloatMode: 240
; IeeeMode: 1
; LDSByteSize: 2304 bytes/workgroup (compile time only)
; SGPRBlocks: 3
; VGPRBlocks: 4
; NumSGPRsForWavesPerEU: 32
; NumVGPRsForWavesPerEU: 36
; AccumOffset: 36
; Occupancy: 8
; WaveLimiterHint : 1
; COMPUTE_PGM_RSRC2:SCRATCH_EN: 0
; COMPUTE_PGM_RSRC2:USER_SGPR: 2
; COMPUTE_PGM_RSRC2:TRAP_HANDLER: 0
; COMPUTE_PGM_RSRC2:TGID_X_EN: 1
; COMPUTE_PGM_RSRC2:TGID_Y_EN: 0
; COMPUTE_PGM_RSRC2:TGID_Z_EN: 0
; COMPUTE_PGM_RSRC2:TIDIG_COMP_CNT: 0
; COMPUTE_PGM_RSRC3_GFX90A:ACCUM_OFFSET: 8
; COMPUTE_PGM_RSRC3_GFX90A:TG_SPLIT: 0
	.section	.text._ZN9rocsparseL29csrgeam_fill_multipass_kernelILj256ELj64EiidEEvllNS_24const_host_device_scalarIT3_EEPKT1_PKT2_PKS2_S3_S6_S9_SB_S6_PS7_PS2_21rocsparse_index_base_SE_SE_bbb,"axG",@progbits,_ZN9rocsparseL29csrgeam_fill_multipass_kernelILj256ELj64EiidEEvllNS_24const_host_device_scalarIT3_EEPKT1_PKT2_PKS2_S3_S6_S9_SB_S6_PS7_PS2_21rocsparse_index_base_SE_SE_bbb,comdat
	.globl	_ZN9rocsparseL29csrgeam_fill_multipass_kernelILj256ELj64EiidEEvllNS_24const_host_device_scalarIT3_EEPKT1_PKT2_PKS2_S3_S6_S9_SB_S6_PS7_PS2_21rocsparse_index_base_SE_SE_bbb ; -- Begin function _ZN9rocsparseL29csrgeam_fill_multipass_kernelILj256ELj64EiidEEvllNS_24const_host_device_scalarIT3_EEPKT1_PKT2_PKS2_S3_S6_S9_SB_S6_PS7_PS2_21rocsparse_index_base_SE_SE_bbb
	.p2align	8
	.type	_ZN9rocsparseL29csrgeam_fill_multipass_kernelILj256ELj64EiidEEvllNS_24const_host_device_scalarIT3_EEPKT1_PKT2_PKS2_S3_S6_S9_SB_S6_PS7_PS2_21rocsparse_index_base_SE_SE_bbb,@function
_ZN9rocsparseL29csrgeam_fill_multipass_kernelILj256ELj64EiidEEvllNS_24const_host_device_scalarIT3_EEPKT1_PKT2_PKS2_S3_S6_S9_SB_S6_PS7_PS2_21rocsparse_index_base_SE_SE_bbb: ; @_ZN9rocsparseL29csrgeam_fill_multipass_kernelILj256ELj64EiidEEvllNS_24const_host_device_scalarIT3_EEPKT1_PKT2_PKS2_S3_S6_S9_SB_S6_PS7_PS2_21rocsparse_index_base_SE_SE_bbb
; %bb.0:
	s_load_dwordx4 s[4:7], s[0:1], 0x68
	s_load_dwordx2 s[12:13], s[0:1], 0x30
	s_load_dword s3, s[0:1], 0x74
	s_load_dwordx4 s[8:11], s[0:1], 0x0
	s_load_dwordx2 s[16:17], s[0:1], 0x10
	s_waitcnt lgkmcnt(0)
	s_bitcmp1_b32 s7, 0
	s_cselect_b64 s[18:19], -1, 0
	s_bitcmp1_b32 s3, 16
	s_cselect_b64 s[14:15], -1, 0
	s_xor_b64 s[20:21], s[18:19], -1
	s_or_b64 s[20:21], s[14:15], s[20:21]
	s_and_b64 s[18:19], s[18:19], exec
	s_cselect_b32 s19, s17, 0
	s_cselect_b32 s18, s16, 0
	s_and_b64 vcc, exec, s[20:21]
	v_mov_b64_e32 v[2:3], s[18:19]
	s_cbranch_vccnz .LBB7_2
; %bb.1:
	v_mov_b64_e32 v[2:3], s[16:17]
	flat_load_dwordx2 v[2:3], v[2:3]
.LBB7_2:
	s_bitcmp1_b32 s3, 8
	s_cselect_b64 s[16:17], -1, 0
	s_xor_b64 s[18:19], s[16:17], -1
	s_or_b64 s[14:15], s[14:15], s[18:19]
	s_and_b64 s[16:17], s[16:17], exec
	s_cselect_b32 s17, s13, 0
	s_cselect_b32 s16, s12, 0
	s_and_b64 vcc, exec, s[14:15]
	v_mov_b64_e32 v[4:5], s[16:17]
	s_cbranch_vccnz .LBB7_4
; %bb.3:
	v_mov_b64_e32 v[4:5], s[12:13]
	flat_load_dwordx2 v[4:5], v[4:5]
.LBB7_4:
	s_lshl_b32 s2, s2, 2
	v_lshrrev_b32_e32 v1, 6, v0
	s_and_b32 s2, s2, 0x3fffffc
	v_or_b32_e32 v6, s2, v1
	v_mov_b32_e32 v7, 0
	v_cmp_gt_i64_e32 vcc, s[8:9], v[6:7]
	s_and_saveexec_b64 s[2:3], vcc
	s_cbranch_execz .LBB7_35
; %bb.5:
	s_load_dwordx4 s[12:15], s[0:1], 0x18
	s_load_dwordx2 s[2:3], s[0:1], 0x38
	s_load_dwordx2 s[8:9], s[0:1], 0x50
	v_lshlrev_b32_e32 v10, 2, v6
	s_waitcnt lgkmcnt(0)
	global_load_dwordx2 v[8:9], v10, s[12:13]
	global_load_dwordx2 v[6:7], v10, s[2:3]
	global_load_dword v1, v10, s[8:9]
	s_waitcnt vmcnt(0)
	v_cmp_ge_i32_e32 vcc, v8, v9
	s_and_saveexec_b64 s[2:3], vcc
	s_xor_b64 s[2:3], exec, s[2:3]
	s_or_saveexec_b64 s[2:3], s[2:3]
	v_subrev_u32_e32 v10, s4, v8
	v_mov_b32_e32 v8, s10
	s_xor_b64 exec, exec, s[2:3]
	s_cbranch_execz .LBB7_7
; %bb.6:
	v_ashrrev_i32_e32 v11, 31, v10
	v_lshl_add_u64 v[12:13], v[10:11], 2, s[14:15]
	global_load_dword v8, v[12:13], off
	s_waitcnt vmcnt(0)
	v_subrev_u32_e32 v8, s4, v8
.LBB7_7:
	s_or_b64 exec, exec, s[2:3]
	s_load_dwordx2 s[2:3], s[0:1], 0x40
	v_cmp_ge_i32_e32 vcc, v6, v7
	v_mov_b32_e32 v29, s10
	s_and_saveexec_b64 s[8:9], vcc
	s_xor_b64 s[8:9], exec, s[8:9]
; %bb.8:
	v_mov_b32_e32 v29, s10
; %bb.9:
	s_or_saveexec_b64 s[20:21], s[8:9]
	s_load_dwordx4 s[16:19], s[0:1], 0x58
	s_load_dwordx2 s[8:9], s[0:1], 0x48
	s_load_dwordx2 s[12:13], s[0:1], 0x28
	v_subrev_u32_e32 v14, s5, v6
	v_mov_b32_e32 v6, v29
	s_xor_b64 exec, exec, s[20:21]
	s_cbranch_execz .LBB7_11
; %bb.10:
	v_ashrrev_i32_e32 v15, 31, v14
	s_waitcnt lgkmcnt(0)
	v_lshl_add_u64 v[12:13], v[14:15], 2, s[2:3]
	global_load_dword v6, v[12:13], off
	s_waitcnt vmcnt(0)
	v_subrev_u32_e32 v6, s5, v6
.LBB7_11:
	s_or_b64 exec, exec, s[20:21]
	v_subrev_u32_e32 v17, s4, v9
	v_mbcnt_lo_u32_b32 v9, -1, 0
	v_subrev_u32_e32 v18, s5, v7
	v_and_b32_e32 v7, 63, v0
	v_mbcnt_hi_u32_b32 v9, -1, v9
	v_and_b32_e32 v11, 0xc0, v0
	v_min_i32_e32 v12, v6, v8
	v_add_u32_e32 v6, v10, v7
	v_and_b32_e32 v10, 64, v9
	v_bitop3_b32 v0, v0, 63, v0 bitop3:0xc
	v_or_b32_e32 v15, 0x800, v11
	v_lshlrev_b32_e32 v16, 3, v11
	v_add_u32_e32 v13, 64, v10
	v_lshrrev_b64 v[10:11], v0, -1
	v_xor_b32_e32 v0, 32, v9
	v_cmp_lt_i32_e32 vcc, v0, v13
	v_subrev_u32_e32 v19, s6, v1
	v_mov_b32_e32 v1, 0
	v_cndmask_b32_e32 v0, v9, v0, vcc
	v_lshlrev_b32_e32 v21, 2, v0
	v_xor_b32_e32 v0, 16, v9
	v_cmp_lt_i32_e32 vcc, v0, v13
	v_add_u32_e32 v8, v14, v7
	v_lshl_or_b32 v14, v7, 3, v16
	v_cndmask_b32_e32 v0, v9, v0, vcc
	v_lshlrev_b32_e32 v22, 2, v0
	v_xor_b32_e32 v0, 8, v9
	v_cmp_lt_i32_e32 vcc, v0, v13
	v_add_u32_e32 v20, s6, v7
	s_mov_b64 s[6:7], 0
	v_cndmask_b32_e32 v0, v9, v0, vcc
	v_lshlrev_b32_e32 v23, 2, v0
	v_xor_b32_e32 v0, 4, v9
	v_cmp_lt_i32_e32 vcc, v0, v13
	v_add_u32_e32 v27, v15, v7
	v_mov_b32_e32 v30, v1
	v_cndmask_b32_e32 v0, v9, v0, vcc
	v_lshlrev_b32_e32 v24, 2, v0
	v_xor_b32_e32 v0, 2, v9
	v_cmp_lt_i32_e32 vcc, v0, v13
	v_mov_b32_e32 v31, v1
	v_mov_b32_e32 v28, 1
	v_cndmask_b32_e32 v0, v9, v0, vcc
	v_lshlrev_b32_e32 v25, 2, v0
	v_xor_b32_e32 v0, 1, v9
	v_cmp_lt_i32_e32 vcc, v0, v13
	s_nop 1
	v_cndmask_b32_e32 v0, v9, v0, vcc
	v_lshlrev_b32_e32 v26, 2, v0
	s_branch .LBB7_13
.LBB7_12:                               ;   in Loop: Header=BB7_13 Depth=1
	s_or_b64 exec, exec, s[20:21]
	ds_bpermute_b32 v0, v21, v13
	s_bcnt1_i32_b64 s0, vcc
	v_add_u32_e32 v19, s0, v19
	s_waitcnt lgkmcnt(0)
	v_min_i32_e32 v0, v0, v13
	ds_bpermute_b32 v7, v22, v0
	s_waitcnt lgkmcnt(0)
	v_min_i32_e32 v0, v7, v0
	ds_bpermute_b32 v7, v23, v0
	;; [unrolled: 3-line block ×5, first 2 shown]
	s_waitcnt lgkmcnt(0)
	v_min_i32_e32 v12, v7, v0
	v_ashrrev_i32_e32 v13, 31, v12
	v_cmp_le_i64_e32 vcc, s[10:11], v[12:13]
	s_or_b64 s[6:7], vcc, s[6:7]
	s_andn2_b64 exec, exec, s[6:7]
	s_cbranch_execz .LBB7_35
.LBB7_13:                               ; =>This Loop Header: Depth=1
                                        ;     Child Loop BB7_16 Depth 2
                                        ;     Child Loop BB7_26 Depth 2
	v_cmp_lt_i32_e32 vcc, v6, v17
	v_mov_b32_e32 v13, v29
	ds_write_b8 v27, v1
	ds_write_b64 v14, v[30:31]
	s_waitcnt lgkmcnt(0)
	s_and_saveexec_b64 s[20:21], vcc
	s_cbranch_execz .LBB7_23
; %bb.14:                               ;   in Loop: Header=BB7_13 Depth=1
	s_mov_b64 s[22:23], 0
	v_mov_b32_e32 v13, v29
	s_branch .LBB7_16
.LBB7_15:                               ;   in Loop: Header=BB7_16 Depth=2
	s_or_b64 exec, exec, s[24:25]
	s_and_b64 s[0:1], exec, s[0:1]
	s_or_b64 s[22:23], s[0:1], s[22:23]
	s_andn2_b64 exec, exec, s[22:23]
	s_cbranch_execz .LBB7_22
.LBB7_16:                               ;   Parent Loop BB7_13 Depth=1
                                        ; =>  This Inner Loop Header: Depth=2
	v_ashrrev_i32_e32 v7, 31, v6
	v_lshl_add_u64 v[32:33], v[6:7], 2, s[14:15]
	global_load_dword v0, v[32:33], off
	s_waitcnt vmcnt(0)
	v_subrev_u32_e32 v9, s4, v0
	v_sub_u32_e32 v0, v9, v12
	v_cmp_gt_u32_e32 vcc, 64, v0
	v_cmp_lt_u32_e64 s[0:1], 63, v0
	s_and_saveexec_b64 s[24:25], s[0:1]
	s_xor_b64 s[0:1], exec, s[24:25]
	s_cbranch_execnz .LBB7_19
; %bb.17:                               ;   in Loop: Header=BB7_16 Depth=2
	s_andn2_saveexec_b64 s[0:1], s[0:1]
	s_cbranch_execnz .LBB7_20
.LBB7_18:                               ;   in Loop: Header=BB7_16 Depth=2
	s_or_b64 exec, exec, s[0:1]
	s_mov_b64 s[0:1], -1
	s_and_saveexec_b64 s[24:25], vcc
	s_cbranch_execz .LBB7_15
	s_branch .LBB7_21
.LBB7_19:                               ;   in Loop: Header=BB7_16 Depth=2
	v_min_i32_e32 v13, v9, v13
                                        ; implicit-def: $vgpr0
	s_andn2_saveexec_b64 s[0:1], s[0:1]
	s_cbranch_execz .LBB7_18
.LBB7_20:                               ;   in Loop: Header=BB7_16 Depth=2
	v_lshl_add_u64 v[32:33], v[6:7], 3, s[12:13]
	global_load_dwordx2 v[32:33], v[32:33], off
	v_add_u32_e32 v7, v15, v0
	v_lshl_add_u32 v0, v0, 3, v16
	ds_write_b8 v7, v28
	s_waitcnt vmcnt(0)
	v_mul_f64 v[32:33], v[2:3], v[32:33]
	ds_write_b64 v0, v[32:33]
	s_or_b64 exec, exec, s[0:1]
	s_mov_b64 s[0:1], -1
	s_and_saveexec_b64 s[24:25], vcc
	s_cbranch_execz .LBB7_15
.LBB7_21:                               ;   in Loop: Header=BB7_16 Depth=2
	v_add_u32_e32 v6, 64, v6
	v_cmp_ge_i32_e32 vcc, v6, v17
	s_orn2_b64 s[0:1], vcc, exec
	s_branch .LBB7_15
.LBB7_22:                               ;   in Loop: Header=BB7_13 Depth=1
	s_or_b64 exec, exec, s[22:23]
.LBB7_23:                               ;   in Loop: Header=BB7_13 Depth=1
	s_or_b64 exec, exec, s[20:21]
	v_cmp_lt_i32_e32 vcc, v8, v18
	s_waitcnt lgkmcnt(0)
	s_and_saveexec_b64 s[20:21], vcc
	s_cbranch_execz .LBB7_33
; %bb.24:                               ;   in Loop: Header=BB7_13 Depth=1
	s_mov_b64 s[22:23], 0
	s_branch .LBB7_26
.LBB7_25:                               ;   in Loop: Header=BB7_26 Depth=2
	s_or_b64 exec, exec, s[24:25]
	s_and_b64 s[0:1], exec, s[0:1]
	s_or_b64 s[22:23], s[0:1], s[22:23]
	s_andn2_b64 exec, exec, s[22:23]
	s_cbranch_execz .LBB7_32
.LBB7_26:                               ;   Parent Loop BB7_13 Depth=1
                                        ; =>  This Inner Loop Header: Depth=2
	v_ashrrev_i32_e32 v9, 31, v8
	v_lshl_add_u64 v[32:33], v[8:9], 2, s[2:3]
	global_load_dword v0, v[32:33], off
	s_waitcnt vmcnt(0)
	v_subrev_u32_e32 v7, s5, v0
	v_sub_u32_e32 v0, v7, v12
	v_cmp_gt_u32_e32 vcc, 64, v0
	v_cmp_lt_u32_e64 s[0:1], 63, v0
	s_and_saveexec_b64 s[24:25], s[0:1]
	s_xor_b64 s[0:1], exec, s[24:25]
	s_cbranch_execnz .LBB7_29
; %bb.27:                               ;   in Loop: Header=BB7_26 Depth=2
	s_andn2_saveexec_b64 s[0:1], s[0:1]
	s_cbranch_execnz .LBB7_30
.LBB7_28:                               ;   in Loop: Header=BB7_26 Depth=2
	s_or_b64 exec, exec, s[0:1]
	s_mov_b64 s[0:1], -1
	s_and_saveexec_b64 s[24:25], vcc
	s_cbranch_execz .LBB7_25
	s_branch .LBB7_31
.LBB7_29:                               ;   in Loop: Header=BB7_26 Depth=2
	v_min_i32_e32 v13, v7, v13
                                        ; implicit-def: $vgpr0
	s_andn2_saveexec_b64 s[0:1], s[0:1]
	s_cbranch_execz .LBB7_28
.LBB7_30:                               ;   in Loop: Header=BB7_26 Depth=2
	v_lshl_add_u64 v[32:33], v[8:9], 3, s[8:9]
	global_load_dwordx2 v[32:33], v[32:33], off
	v_lshl_add_u32 v7, v0, 3, v16
	ds_read_b64 v[34:35], v7
	v_add_u32_e32 v0, v15, v0
	ds_write_b8 v0, v28
	s_waitcnt vmcnt(0) lgkmcnt(1)
	v_fmac_f64_e32 v[34:35], v[4:5], v[32:33]
	ds_write_b64 v7, v[34:35]
	s_or_b64 exec, exec, s[0:1]
	s_mov_b64 s[0:1], -1
	s_and_saveexec_b64 s[24:25], vcc
	s_cbranch_execz .LBB7_25
.LBB7_31:                               ;   in Loop: Header=BB7_26 Depth=2
	v_add_u32_e32 v8, 64, v8
	v_cmp_ge_i32_e32 vcc, v8, v18
	s_orn2_b64 s[0:1], vcc, exec
	s_branch .LBB7_25
.LBB7_32:                               ;   in Loop: Header=BB7_13 Depth=1
	s_or_b64 exec, exec, s[22:23]
.LBB7_33:                               ;   in Loop: Header=BB7_13 Depth=1
	s_or_b64 exec, exec, s[20:21]
	s_waitcnt lgkmcnt(0)
	ds_read_u8 v0, v27
	s_waitcnt lgkmcnt(0)
	v_and_b32_e32 v7, 1, v0
	v_cmp_eq_u32_e64 s[0:1], 1, v7
	v_cmp_ne_u16_e32 vcc, 0, v0
	s_and_saveexec_b64 s[20:21], s[0:1]
	s_cbranch_execz .LBB7_12
; %bb.34:                               ;   in Loop: Header=BB7_13 Depth=1
	v_and_b32_e32 v7, vcc_lo, v10
	v_and_b32_e32 v0, vcc_hi, v11
	v_bcnt_u32_b32 v7, v7, 0
	ds_read_b64 v[32:33], v14
	v_bcnt_u32_b32 v0, v0, v7
	v_add3_u32 v0, v19, v0, -1
	v_add_u32_e32 v7, v20, v12
	v_lshl_add_u64 v[34:35], v[0:1], 2, s[16:17]
	global_store_dword v[34:35], v7, off
	v_lshl_add_u64 v[34:35], v[0:1], 3, s[18:19]
	s_waitcnt lgkmcnt(0)
	global_store_dwordx2 v[34:35], v[32:33], off
	s_branch .LBB7_12
.LBB7_35:
	s_endpgm
	.section	.rodata,"a",@progbits
	.p2align	6, 0x0
	.amdhsa_kernel _ZN9rocsparseL29csrgeam_fill_multipass_kernelILj256ELj64EiidEEvllNS_24const_host_device_scalarIT3_EEPKT1_PKT2_PKS2_S3_S6_S9_SB_S6_PS7_PS2_21rocsparse_index_base_SE_SE_bbb
		.amdhsa_group_segment_fixed_size 2304
		.amdhsa_private_segment_fixed_size 0
		.amdhsa_kernarg_size 120
		.amdhsa_user_sgpr_count 2
		.amdhsa_user_sgpr_dispatch_ptr 0
		.amdhsa_user_sgpr_queue_ptr 0
		.amdhsa_user_sgpr_kernarg_segment_ptr 1
		.amdhsa_user_sgpr_dispatch_id 0
		.amdhsa_user_sgpr_kernarg_preload_length 0
		.amdhsa_user_sgpr_kernarg_preload_offset 0
		.amdhsa_user_sgpr_private_segment_size 0
		.amdhsa_uses_dynamic_stack 0
		.amdhsa_enable_private_segment 0
		.amdhsa_system_sgpr_workgroup_id_x 1
		.amdhsa_system_sgpr_workgroup_id_y 0
		.amdhsa_system_sgpr_workgroup_id_z 0
		.amdhsa_system_sgpr_workgroup_info 0
		.amdhsa_system_vgpr_workitem_id 0
		.amdhsa_next_free_vgpr 36
		.amdhsa_next_free_sgpr 26
		.amdhsa_accum_offset 36
		.amdhsa_reserve_vcc 1
		.amdhsa_float_round_mode_32 0
		.amdhsa_float_round_mode_16_64 0
		.amdhsa_float_denorm_mode_32 3
		.amdhsa_float_denorm_mode_16_64 3
		.amdhsa_dx10_clamp 1
		.amdhsa_ieee_mode 1
		.amdhsa_fp16_overflow 0
		.amdhsa_tg_split 0
		.amdhsa_exception_fp_ieee_invalid_op 0
		.amdhsa_exception_fp_denorm_src 0
		.amdhsa_exception_fp_ieee_div_zero 0
		.amdhsa_exception_fp_ieee_overflow 0
		.amdhsa_exception_fp_ieee_underflow 0
		.amdhsa_exception_fp_ieee_inexact 0
		.amdhsa_exception_int_div_zero 0
	.end_amdhsa_kernel
	.section	.text._ZN9rocsparseL29csrgeam_fill_multipass_kernelILj256ELj64EiidEEvllNS_24const_host_device_scalarIT3_EEPKT1_PKT2_PKS2_S3_S6_S9_SB_S6_PS7_PS2_21rocsparse_index_base_SE_SE_bbb,"axG",@progbits,_ZN9rocsparseL29csrgeam_fill_multipass_kernelILj256ELj64EiidEEvllNS_24const_host_device_scalarIT3_EEPKT1_PKT2_PKS2_S3_S6_S9_SB_S6_PS7_PS2_21rocsparse_index_base_SE_SE_bbb,comdat
.Lfunc_end7:
	.size	_ZN9rocsparseL29csrgeam_fill_multipass_kernelILj256ELj64EiidEEvllNS_24const_host_device_scalarIT3_EEPKT1_PKT2_PKS2_S3_S6_S9_SB_S6_PS7_PS2_21rocsparse_index_base_SE_SE_bbb, .Lfunc_end7-_ZN9rocsparseL29csrgeam_fill_multipass_kernelILj256ELj64EiidEEvllNS_24const_host_device_scalarIT3_EEPKT1_PKT2_PKS2_S3_S6_S9_SB_S6_PS7_PS2_21rocsparse_index_base_SE_SE_bbb
                                        ; -- End function
	.set _ZN9rocsparseL29csrgeam_fill_multipass_kernelILj256ELj64EiidEEvllNS_24const_host_device_scalarIT3_EEPKT1_PKT2_PKS2_S3_S6_S9_SB_S6_PS7_PS2_21rocsparse_index_base_SE_SE_bbb.num_vgpr, 36
	.set _ZN9rocsparseL29csrgeam_fill_multipass_kernelILj256ELj64EiidEEvllNS_24const_host_device_scalarIT3_EEPKT1_PKT2_PKS2_S3_S6_S9_SB_S6_PS7_PS2_21rocsparse_index_base_SE_SE_bbb.num_agpr, 0
	.set _ZN9rocsparseL29csrgeam_fill_multipass_kernelILj256ELj64EiidEEvllNS_24const_host_device_scalarIT3_EEPKT1_PKT2_PKS2_S3_S6_S9_SB_S6_PS7_PS2_21rocsparse_index_base_SE_SE_bbb.numbered_sgpr, 26
	.set _ZN9rocsparseL29csrgeam_fill_multipass_kernelILj256ELj64EiidEEvllNS_24const_host_device_scalarIT3_EEPKT1_PKT2_PKS2_S3_S6_S9_SB_S6_PS7_PS2_21rocsparse_index_base_SE_SE_bbb.num_named_barrier, 0
	.set _ZN9rocsparseL29csrgeam_fill_multipass_kernelILj256ELj64EiidEEvllNS_24const_host_device_scalarIT3_EEPKT1_PKT2_PKS2_S3_S6_S9_SB_S6_PS7_PS2_21rocsparse_index_base_SE_SE_bbb.private_seg_size, 0
	.set _ZN9rocsparseL29csrgeam_fill_multipass_kernelILj256ELj64EiidEEvllNS_24const_host_device_scalarIT3_EEPKT1_PKT2_PKS2_S3_S6_S9_SB_S6_PS7_PS2_21rocsparse_index_base_SE_SE_bbb.uses_vcc, 1
	.set _ZN9rocsparseL29csrgeam_fill_multipass_kernelILj256ELj64EiidEEvllNS_24const_host_device_scalarIT3_EEPKT1_PKT2_PKS2_S3_S6_S9_SB_S6_PS7_PS2_21rocsparse_index_base_SE_SE_bbb.uses_flat_scratch, 0
	.set _ZN9rocsparseL29csrgeam_fill_multipass_kernelILj256ELj64EiidEEvllNS_24const_host_device_scalarIT3_EEPKT1_PKT2_PKS2_S3_S6_S9_SB_S6_PS7_PS2_21rocsparse_index_base_SE_SE_bbb.has_dyn_sized_stack, 0
	.set _ZN9rocsparseL29csrgeam_fill_multipass_kernelILj256ELj64EiidEEvllNS_24const_host_device_scalarIT3_EEPKT1_PKT2_PKS2_S3_S6_S9_SB_S6_PS7_PS2_21rocsparse_index_base_SE_SE_bbb.has_recursion, 0
	.set _ZN9rocsparseL29csrgeam_fill_multipass_kernelILj256ELj64EiidEEvllNS_24const_host_device_scalarIT3_EEPKT1_PKT2_PKS2_S3_S6_S9_SB_S6_PS7_PS2_21rocsparse_index_base_SE_SE_bbb.has_indirect_call, 0
	.section	.AMDGPU.csdata,"",@progbits
; Kernel info:
; codeLenInByte = 1408
; TotalNumSgprs: 32
; NumVgprs: 36
; NumAgprs: 0
; TotalNumVgprs: 36
; ScratchSize: 0
; MemoryBound: 0
; FloatMode: 240
; IeeeMode: 1
; LDSByteSize: 2304 bytes/workgroup (compile time only)
; SGPRBlocks: 3
; VGPRBlocks: 4
; NumSGPRsForWavesPerEU: 32
; NumVGPRsForWavesPerEU: 36
; AccumOffset: 36
; Occupancy: 8
; WaveLimiterHint : 1
; COMPUTE_PGM_RSRC2:SCRATCH_EN: 0
; COMPUTE_PGM_RSRC2:USER_SGPR: 2
; COMPUTE_PGM_RSRC2:TRAP_HANDLER: 0
; COMPUTE_PGM_RSRC2:TGID_X_EN: 1
; COMPUTE_PGM_RSRC2:TGID_Y_EN: 0
; COMPUTE_PGM_RSRC2:TGID_Z_EN: 0
; COMPUTE_PGM_RSRC2:TIDIG_COMP_CNT: 0
; COMPUTE_PGM_RSRC3_GFX90A:ACCUM_OFFSET: 8
; COMPUTE_PGM_RSRC3_GFX90A:TG_SPLIT: 0
	.section	.text._ZN9rocsparseL29csrgeam_fill_multipass_kernelILj256ELj32ElidEEvllNS_24const_host_device_scalarIT3_EEPKT1_PKT2_PKS2_S3_S6_S9_SB_S6_PS7_PS2_21rocsparse_index_base_SE_SE_bbb,"axG",@progbits,_ZN9rocsparseL29csrgeam_fill_multipass_kernelILj256ELj32ElidEEvllNS_24const_host_device_scalarIT3_EEPKT1_PKT2_PKS2_S3_S6_S9_SB_S6_PS7_PS2_21rocsparse_index_base_SE_SE_bbb,comdat
	.globl	_ZN9rocsparseL29csrgeam_fill_multipass_kernelILj256ELj32ElidEEvllNS_24const_host_device_scalarIT3_EEPKT1_PKT2_PKS2_S3_S6_S9_SB_S6_PS7_PS2_21rocsparse_index_base_SE_SE_bbb ; -- Begin function _ZN9rocsparseL29csrgeam_fill_multipass_kernelILj256ELj32ElidEEvllNS_24const_host_device_scalarIT3_EEPKT1_PKT2_PKS2_S3_S6_S9_SB_S6_PS7_PS2_21rocsparse_index_base_SE_SE_bbb
	.p2align	8
	.type	_ZN9rocsparseL29csrgeam_fill_multipass_kernelILj256ELj32ElidEEvllNS_24const_host_device_scalarIT3_EEPKT1_PKT2_PKS2_S3_S6_S9_SB_S6_PS7_PS2_21rocsparse_index_base_SE_SE_bbb,@function
_ZN9rocsparseL29csrgeam_fill_multipass_kernelILj256ELj32ElidEEvllNS_24const_host_device_scalarIT3_EEPKT1_PKT2_PKS2_S3_S6_S9_SB_S6_PS7_PS2_21rocsparse_index_base_SE_SE_bbb: ; @_ZN9rocsparseL29csrgeam_fill_multipass_kernelILj256ELj32ElidEEvllNS_24const_host_device_scalarIT3_EEPKT1_PKT2_PKS2_S3_S6_S9_SB_S6_PS7_PS2_21rocsparse_index_base_SE_SE_bbb
; %bb.0:
	s_load_dwordx4 s[4:7], s[0:1], 0x68
	s_load_dwordx2 s[12:13], s[0:1], 0x30
	s_load_dword s3, s[0:1], 0x74
	s_load_dwordx4 s[8:11], s[0:1], 0x0
	s_load_dwordx2 s[16:17], s[0:1], 0x10
	s_waitcnt lgkmcnt(0)
	s_bitcmp1_b32 s7, 0
	s_cselect_b64 s[18:19], -1, 0
	s_bitcmp1_b32 s3, 16
	s_cselect_b64 s[14:15], -1, 0
	s_xor_b64 s[20:21], s[18:19], -1
	s_or_b64 s[20:21], s[14:15], s[20:21]
	s_and_b64 s[18:19], s[18:19], exec
	s_cselect_b32 s19, s17, 0
	s_cselect_b32 s18, s16, 0
	s_and_b64 vcc, exec, s[20:21]
	v_mov_b64_e32 v[10:11], s[18:19]
	s_cbranch_vccnz .LBB8_2
; %bb.1:
	v_mov_b64_e32 v[2:3], s[16:17]
	flat_load_dwordx2 v[10:11], v[2:3]
.LBB8_2:
	s_bitcmp1_b32 s3, 8
	s_cselect_b64 s[16:17], -1, 0
	s_xor_b64 s[18:19], s[16:17], -1
	s_or_b64 s[14:15], s[14:15], s[18:19]
	s_and_b64 s[16:17], s[16:17], exec
	s_cselect_b32 s17, s13, 0
	s_cselect_b32 s16, s12, 0
	s_and_b64 vcc, exec, s[14:15]
	v_mov_b64_e32 v[12:13], s[16:17]
	s_cbranch_vccnz .LBB8_4
; %bb.3:
	v_mov_b64_e32 v[2:3], s[12:13]
	flat_load_dwordx2 v[12:13], v[2:3]
.LBB8_4:
	s_lshl_b32 s2, s2, 3
	v_lshrrev_b32_e32 v1, 5, v0
	s_and_b32 s2, s2, 0x7fffff8
	v_or_b32_e32 v2, s2, v1
	v_mov_b32_e32 v3, 0
	v_cmp_gt_i64_e32 vcc, s[8:9], v[2:3]
	s_and_saveexec_b64 s[2:3], vcc
	s_cbranch_execz .LBB8_35
; %bb.5:
	s_load_dwordx4 s[12:15], s[0:1], 0x18
	s_load_dwordx2 s[2:3], s[0:1], 0x50
	s_load_dwordx2 s[8:9], s[0:1], 0x38
	v_lshlrev_b32_e32 v1, 3, v2
	s_waitcnt lgkmcnt(0)
	global_load_dwordx4 v[2:5], v1, s[12:13]
	global_load_dwordx4 v[6:9], v1, s[8:9]
	global_load_dwordx2 v[16:17], v1, s[2:3]
	s_waitcnt vmcnt(0)
	v_subrev_co_u32_e32 v14, vcc, s4, v2
	s_nop 1
	v_subbrev_co_u32_e32 v15, vcc, 0, v3, vcc
	v_cmp_ge_i64_e32 vcc, v[2:3], v[4:5]
	s_and_saveexec_b64 s[2:3], vcc
	s_xor_b64 s[2:3], exec, s[2:3]
	s_or_saveexec_b64 s[2:3], s[2:3]
	v_mov_b32_e32 v1, s10
	s_xor_b64 exec, exec, s[2:3]
	s_cbranch_execz .LBB8_7
; %bb.6:
	v_lshl_add_u64 v[2:3], v[14:15], 2, s[14:15]
	global_load_dword v1, v[2:3], off
	s_waitcnt vmcnt(0)
	v_subrev_u32_e32 v1, s4, v1
.LBB8_7:
	s_or_b64 exec, exec, s[2:3]
	s_load_dwordx2 s[2:3], s[0:1], 0x40
	v_subrev_co_u32_e32 v20, vcc, s5, v6
	s_mov_b32 s7, s5
	s_nop 0
	v_subbrev_co_u32_e32 v21, vcc, 0, v7, vcc
	v_cmp_ge_i64_e32 vcc, v[6:7], v[8:9]
	v_mov_b32_e32 v35, s10
	s_and_saveexec_b64 s[8:9], vcc
	s_xor_b64 s[8:9], exec, s[8:9]
; %bb.8:
	v_mov_b32_e32 v35, s10
; %bb.9:
	s_or_saveexec_b64 s[20:21], s[8:9]
	s_load_dwordx4 s[16:19], s[0:1], 0x58
	s_load_dwordx2 s[8:9], s[0:1], 0x48
	s_load_dwordx2 s[12:13], s[0:1], 0x28
	v_mov_b32_e32 v18, v35
	s_xor_b64 exec, exec, s[20:21]
	s_cbranch_execz .LBB8_11
; %bb.10:
	s_waitcnt lgkmcnt(0)
	v_lshl_add_u64 v[2:3], v[20:21], 2, s[2:3]
	global_load_dword v2, v[2:3], off
	s_waitcnt vmcnt(0)
	v_subrev_u32_e32 v18, s5, v2
.LBB8_11:
	s_or_b64 exec, exec, s[20:21]
	v_and_b32_e32 v2, 0xe0, v0
	v_or_b32_e32 v22, 0x800, v2
	v_lshlrev_b32_e32 v23, 3, v2
	v_subrev_co_u32_e32 v2, vcc, s4, v4
	v_min_i32_e32 v18, v18, v1
	s_nop 0
	v_subbrev_co_u32_e32 v3, vcc, 0, v5, vcc
	v_subrev_co_u32_e32 v4, vcc, s7, v8
	v_mbcnt_lo_u32_b32 v1, -1, 0
	s_nop 0
	v_subbrev_co_u32_e32 v5, vcc, 0, v9, vcc
	v_mbcnt_hi_u32_b32 v1, -1, v1
	v_subrev_co_u32_e32 v6, vcc, s6, v16
	v_and_b32_e32 v8, 31, v0
	v_and_b32_e32 v19, 64, v1
	v_bitop3_b32 v0, v0, 31, v0 bitop3:0xc
	v_subbrev_co_u32_e32 v7, vcc, 0, v17, vcc
	v_add_u32_e32 v19, 64, v19
	v_lshrrev_b32_e64 v25, v0, -1
	v_xor_b32_e32 v0, 16, v1
	v_cmp_lt_i32_e32 vcc, v0, v19
	v_mov_b32_e32 v9, 0
	s_mov_b32 s7, 0
	v_cndmask_b32_e32 v0, v1, v0, vcc
	v_lshlrev_b32_e32 v27, 2, v0
	v_xor_b32_e32 v0, 8, v1
	v_cmp_lt_i32_e32 vcc, v0, v19
	v_lshl_add_u64 v[14:15], v[14:15], 0, v[8:9]
	v_lshl_add_u64 v[16:17], v[20:21], 0, v[8:9]
	v_cndmask_b32_e32 v0, v1, v0, vcc
	v_lshlrev_b32_e32 v28, 2, v0
	v_xor_b32_e32 v0, 4, v1
	v_cmp_lt_i32_e32 vcc, v0, v19
	v_lshl_or_b32 v24, v8, 3, v23
	v_add_u32_e32 v26, s6, v8
	v_cndmask_b32_e32 v0, v1, v0, vcc
	v_lshlrev_b32_e32 v29, 2, v0
	v_xor_b32_e32 v0, 2, v1
	v_cmp_lt_i32_e32 vcc, v0, v19
	s_mov_b64 s[20:21], 0
	v_add_u32_e32 v32, v22, v8
	v_cndmask_b32_e32 v0, v1, v0, vcc
	v_lshlrev_b32_e32 v30, 2, v0
	v_xor_b32_e32 v0, 1, v1
	v_cmp_lt_i32_e32 vcc, v0, v19
	v_mov_b32_e32 v36, v9
	v_mov_b32_e32 v37, v9
	v_cndmask_b32_e32 v0, v1, v0, vcc
	v_lshlrev_b32_e32 v31, 2, v0
	v_mov_b32_e32 v33, 1
	s_mov_b64 s[22:23], 0x80
	s_mov_b64 s[24:25], 0x100
	s_branch .LBB8_13
.LBB8_12:                               ;   in Loop: Header=BB8_13 Depth=1
	s_or_b64 exec, exec, s[26:27]
	ds_bpermute_b32 v0, v27, v19
	s_bcnt1_i32_b64 s6, vcc
	v_lshl_add_u64 v[6:7], s[6:7], 0, v[6:7]
	s_waitcnt lgkmcnt(0)
	v_min_i32_e32 v0, v0, v19
	ds_bpermute_b32 v1, v28, v0
	s_waitcnt lgkmcnt(0)
	v_min_i32_e32 v0, v1, v0
	ds_bpermute_b32 v1, v29, v0
	;; [unrolled: 3-line block ×4, first 2 shown]
	s_waitcnt lgkmcnt(0)
	v_min_i32_e32 v18, v1, v0
	v_ashrrev_i32_e32 v19, 31, v18
	v_cmp_le_i64_e32 vcc, s[10:11], v[18:19]
	s_or_b64 s[20:21], vcc, s[20:21]
	s_andn2_b64 exec, exec, s[20:21]
	s_cbranch_execz .LBB8_35
.LBB8_13:                               ; =>This Loop Header: Depth=1
                                        ;     Child Loop BB8_16 Depth 2
                                        ;     Child Loop BB8_26 Depth 2
	v_cmp_lt_i64_e32 vcc, v[14:15], v[2:3]
	v_mov_b32_e32 v19, v35
	ds_write_b8 v32, v9
	ds_write_b64 v24, v[36:37]
	s_waitcnt lgkmcnt(0)
	s_and_saveexec_b64 s[26:27], vcc
	s_cbranch_execz .LBB8_23
; %bb.14:                               ;   in Loop: Header=BB8_13 Depth=1
	v_lshl_add_u64 v[0:1], v[14:15], 2, s[14:15]
	v_lshl_add_u64 v[20:21], v[14:15], 3, s[12:13]
	s_mov_b64 s[28:29], 0
	v_mov_b32_e32 v19, v35
	s_branch .LBB8_16
.LBB8_15:                               ;   in Loop: Header=BB8_16 Depth=2
	s_or_b64 exec, exec, s[30:31]
	s_and_b64 s[0:1], exec, s[0:1]
	s_or_b64 s[28:29], s[0:1], s[28:29]
	s_andn2_b64 exec, exec, s[28:29]
	s_cbranch_execz .LBB8_22
.LBB8_16:                               ;   Parent Loop BB8_13 Depth=1
                                        ; =>  This Inner Loop Header: Depth=2
	global_load_dword v8, v[0:1], off
	s_waitcnt vmcnt(0)
	v_subrev_u32_e32 v34, s4, v8
	v_sub_u32_e32 v8, v34, v18
	v_cmp_gt_u32_e32 vcc, 32, v8
	v_cmp_lt_u32_e64 s[0:1], 31, v8
	s_and_saveexec_b64 s[30:31], s[0:1]
	s_xor_b64 s[0:1], exec, s[30:31]
	s_cbranch_execnz .LBB8_19
; %bb.17:                               ;   in Loop: Header=BB8_16 Depth=2
	s_andn2_saveexec_b64 s[0:1], s[0:1]
	s_cbranch_execnz .LBB8_20
.LBB8_18:                               ;   in Loop: Header=BB8_16 Depth=2
	s_or_b64 exec, exec, s[0:1]
	s_mov_b64 s[0:1], -1
	s_and_saveexec_b64 s[30:31], vcc
	s_cbranch_execz .LBB8_15
	s_branch .LBB8_21
.LBB8_19:                               ;   in Loop: Header=BB8_16 Depth=2
	v_min_i32_e32 v19, v34, v19
                                        ; implicit-def: $vgpr8
	s_andn2_saveexec_b64 s[0:1], s[0:1]
	s_cbranch_execz .LBB8_18
.LBB8_20:                               ;   in Loop: Header=BB8_16 Depth=2
	global_load_dwordx2 v[38:39], v[20:21], off
	v_add_u32_e32 v34, v22, v8
	v_lshl_add_u32 v8, v8, 3, v23
	ds_write_b8 v34, v33
	s_waitcnt vmcnt(0)
	v_mul_f64 v[38:39], v[10:11], v[38:39]
	ds_write_b64 v8, v[38:39]
	s_or_b64 exec, exec, s[0:1]
	s_mov_b64 s[0:1], -1
	s_and_saveexec_b64 s[30:31], vcc
	s_cbranch_execz .LBB8_15
.LBB8_21:                               ;   in Loop: Header=BB8_16 Depth=2
	v_lshl_add_u64 v[14:15], v[14:15], 0, 32
	v_cmp_ge_i64_e32 vcc, v[14:15], v[2:3]
	v_lshl_add_u64 v[0:1], v[0:1], 0, s[22:23]
	v_lshl_add_u64 v[20:21], v[20:21], 0, s[24:25]
	s_orn2_b64 s[0:1], vcc, exec
	s_branch .LBB8_15
.LBB8_22:                               ;   in Loop: Header=BB8_13 Depth=1
	s_or_b64 exec, exec, s[28:29]
.LBB8_23:                               ;   in Loop: Header=BB8_13 Depth=1
	s_or_b64 exec, exec, s[26:27]
	v_cmp_lt_i64_e32 vcc, v[16:17], v[4:5]
	s_waitcnt lgkmcnt(0)
	s_and_saveexec_b64 s[26:27], vcc
	s_cbranch_execz .LBB8_33
; %bb.24:                               ;   in Loop: Header=BB8_13 Depth=1
	v_lshl_add_u64 v[0:1], v[16:17], 2, s[2:3]
	v_lshl_add_u64 v[20:21], v[16:17], 3, s[8:9]
	s_mov_b64 s[28:29], 0
	s_branch .LBB8_26
.LBB8_25:                               ;   in Loop: Header=BB8_26 Depth=2
	s_or_b64 exec, exec, s[30:31]
	s_and_b64 s[0:1], exec, s[0:1]
	s_or_b64 s[28:29], s[0:1], s[28:29]
	s_andn2_b64 exec, exec, s[28:29]
	s_cbranch_execz .LBB8_32
.LBB8_26:                               ;   Parent Loop BB8_13 Depth=1
                                        ; =>  This Inner Loop Header: Depth=2
	global_load_dword v8, v[0:1], off
	s_waitcnt vmcnt(0)
	v_subrev_u32_e32 v34, s5, v8
	v_sub_u32_e32 v8, v34, v18
	v_cmp_gt_u32_e32 vcc, 32, v8
	v_cmp_lt_u32_e64 s[0:1], 31, v8
	s_and_saveexec_b64 s[30:31], s[0:1]
	s_xor_b64 s[0:1], exec, s[30:31]
	s_cbranch_execnz .LBB8_29
; %bb.27:                               ;   in Loop: Header=BB8_26 Depth=2
	s_andn2_saveexec_b64 s[0:1], s[0:1]
	s_cbranch_execnz .LBB8_30
.LBB8_28:                               ;   in Loop: Header=BB8_26 Depth=2
	s_or_b64 exec, exec, s[0:1]
	s_mov_b64 s[0:1], -1
	s_and_saveexec_b64 s[30:31], vcc
	s_cbranch_execz .LBB8_25
	s_branch .LBB8_31
.LBB8_29:                               ;   in Loop: Header=BB8_26 Depth=2
	v_min_i32_e32 v19, v34, v19
                                        ; implicit-def: $vgpr8
	s_andn2_saveexec_b64 s[0:1], s[0:1]
	s_cbranch_execz .LBB8_28
.LBB8_30:                               ;   in Loop: Header=BB8_26 Depth=2
	global_load_dwordx2 v[38:39], v[20:21], off
	v_lshl_add_u32 v34, v8, 3, v23
	ds_read_b64 v[40:41], v34
	v_add_u32_e32 v8, v22, v8
	ds_write_b8 v8, v33
	s_waitcnt vmcnt(0) lgkmcnt(1)
	v_fmac_f64_e32 v[40:41], v[12:13], v[38:39]
	ds_write_b64 v34, v[40:41]
	s_or_b64 exec, exec, s[0:1]
	s_mov_b64 s[0:1], -1
	s_and_saveexec_b64 s[30:31], vcc
	s_cbranch_execz .LBB8_25
.LBB8_31:                               ;   in Loop: Header=BB8_26 Depth=2
	v_lshl_add_u64 v[16:17], v[16:17], 0, 32
	v_cmp_ge_i64_e32 vcc, v[16:17], v[4:5]
	v_lshl_add_u64 v[0:1], v[0:1], 0, s[22:23]
	v_lshl_add_u64 v[20:21], v[20:21], 0, s[24:25]
	s_orn2_b64 s[0:1], vcc, exec
	s_branch .LBB8_25
.LBB8_32:                               ;   in Loop: Header=BB8_13 Depth=1
	s_or_b64 exec, exec, s[28:29]
.LBB8_33:                               ;   in Loop: Header=BB8_13 Depth=1
	s_or_b64 exec, exec, s[26:27]
	s_waitcnt lgkmcnt(0)
	ds_read_u8 v0, v32
	s_waitcnt lgkmcnt(0)
	v_and_b32_e32 v1, 1, v0
	v_cmp_eq_u32_e64 s[0:1], 1, v1
	v_cmp_ne_u16_e32 vcc, 0, v0
	s_and_saveexec_b64 s[26:27], s[0:1]
	s_cbranch_execz .LBB8_12
; %bb.34:                               ;   in Loop: Header=BB8_13 Depth=1
	v_and_b32_e32 v0, vcc_lo, v25
	v_bcnt_u32_b32 v8, v0, 0
	ds_read_b64 v[0:1], v24
	v_lshl_add_u64 v[20:21], v[6:7], 0, v[8:9]
	v_add_u32_e32 v18, v26, v18
	v_lshl_add_u64 v[38:39], v[20:21], 2, s[16:17]
	v_lshl_add_u64 v[20:21], v[20:21], 3, s[18:19]
	global_store_dword v[38:39], v18, off offset:-4
	s_waitcnt lgkmcnt(0)
	global_store_dwordx2 v[20:21], v[0:1], off offset:-8
	s_branch .LBB8_12
.LBB8_35:
	s_endpgm
	.section	.rodata,"a",@progbits
	.p2align	6, 0x0
	.amdhsa_kernel _ZN9rocsparseL29csrgeam_fill_multipass_kernelILj256ELj32ElidEEvllNS_24const_host_device_scalarIT3_EEPKT1_PKT2_PKS2_S3_S6_S9_SB_S6_PS7_PS2_21rocsparse_index_base_SE_SE_bbb
		.amdhsa_group_segment_fixed_size 2304
		.amdhsa_private_segment_fixed_size 0
		.amdhsa_kernarg_size 120
		.amdhsa_user_sgpr_count 2
		.amdhsa_user_sgpr_dispatch_ptr 0
		.amdhsa_user_sgpr_queue_ptr 0
		.amdhsa_user_sgpr_kernarg_segment_ptr 1
		.amdhsa_user_sgpr_dispatch_id 0
		.amdhsa_user_sgpr_kernarg_preload_length 0
		.amdhsa_user_sgpr_kernarg_preload_offset 0
		.amdhsa_user_sgpr_private_segment_size 0
		.amdhsa_uses_dynamic_stack 0
		.amdhsa_enable_private_segment 0
		.amdhsa_system_sgpr_workgroup_id_x 1
		.amdhsa_system_sgpr_workgroup_id_y 0
		.amdhsa_system_sgpr_workgroup_id_z 0
		.amdhsa_system_sgpr_workgroup_info 0
		.amdhsa_system_vgpr_workitem_id 0
		.amdhsa_next_free_vgpr 42
		.amdhsa_next_free_sgpr 32
		.amdhsa_accum_offset 44
		.amdhsa_reserve_vcc 1
		.amdhsa_float_round_mode_32 0
		.amdhsa_float_round_mode_16_64 0
		.amdhsa_float_denorm_mode_32 3
		.amdhsa_float_denorm_mode_16_64 3
		.amdhsa_dx10_clamp 1
		.amdhsa_ieee_mode 1
		.amdhsa_fp16_overflow 0
		.amdhsa_tg_split 0
		.amdhsa_exception_fp_ieee_invalid_op 0
		.amdhsa_exception_fp_denorm_src 0
		.amdhsa_exception_fp_ieee_div_zero 0
		.amdhsa_exception_fp_ieee_overflow 0
		.amdhsa_exception_fp_ieee_underflow 0
		.amdhsa_exception_fp_ieee_inexact 0
		.amdhsa_exception_int_div_zero 0
	.end_amdhsa_kernel
	.section	.text._ZN9rocsparseL29csrgeam_fill_multipass_kernelILj256ELj32ElidEEvllNS_24const_host_device_scalarIT3_EEPKT1_PKT2_PKS2_S3_S6_S9_SB_S6_PS7_PS2_21rocsparse_index_base_SE_SE_bbb,"axG",@progbits,_ZN9rocsparseL29csrgeam_fill_multipass_kernelILj256ELj32ElidEEvllNS_24const_host_device_scalarIT3_EEPKT1_PKT2_PKS2_S3_S6_S9_SB_S6_PS7_PS2_21rocsparse_index_base_SE_SE_bbb,comdat
.Lfunc_end8:
	.size	_ZN9rocsparseL29csrgeam_fill_multipass_kernelILj256ELj32ElidEEvllNS_24const_host_device_scalarIT3_EEPKT1_PKT2_PKS2_S3_S6_S9_SB_S6_PS7_PS2_21rocsparse_index_base_SE_SE_bbb, .Lfunc_end8-_ZN9rocsparseL29csrgeam_fill_multipass_kernelILj256ELj32ElidEEvllNS_24const_host_device_scalarIT3_EEPKT1_PKT2_PKS2_S3_S6_S9_SB_S6_PS7_PS2_21rocsparse_index_base_SE_SE_bbb
                                        ; -- End function
	.set _ZN9rocsparseL29csrgeam_fill_multipass_kernelILj256ELj32ElidEEvllNS_24const_host_device_scalarIT3_EEPKT1_PKT2_PKS2_S3_S6_S9_SB_S6_PS7_PS2_21rocsparse_index_base_SE_SE_bbb.num_vgpr, 42
	.set _ZN9rocsparseL29csrgeam_fill_multipass_kernelILj256ELj32ElidEEvllNS_24const_host_device_scalarIT3_EEPKT1_PKT2_PKS2_S3_S6_S9_SB_S6_PS7_PS2_21rocsparse_index_base_SE_SE_bbb.num_agpr, 0
	.set _ZN9rocsparseL29csrgeam_fill_multipass_kernelILj256ELj32ElidEEvllNS_24const_host_device_scalarIT3_EEPKT1_PKT2_PKS2_S3_S6_S9_SB_S6_PS7_PS2_21rocsparse_index_base_SE_SE_bbb.numbered_sgpr, 32
	.set _ZN9rocsparseL29csrgeam_fill_multipass_kernelILj256ELj32ElidEEvllNS_24const_host_device_scalarIT3_EEPKT1_PKT2_PKS2_S3_S6_S9_SB_S6_PS7_PS2_21rocsparse_index_base_SE_SE_bbb.num_named_barrier, 0
	.set _ZN9rocsparseL29csrgeam_fill_multipass_kernelILj256ELj32ElidEEvllNS_24const_host_device_scalarIT3_EEPKT1_PKT2_PKS2_S3_S6_S9_SB_S6_PS7_PS2_21rocsparse_index_base_SE_SE_bbb.private_seg_size, 0
	.set _ZN9rocsparseL29csrgeam_fill_multipass_kernelILj256ELj32ElidEEvllNS_24const_host_device_scalarIT3_EEPKT1_PKT2_PKS2_S3_S6_S9_SB_S6_PS7_PS2_21rocsparse_index_base_SE_SE_bbb.uses_vcc, 1
	.set _ZN9rocsparseL29csrgeam_fill_multipass_kernelILj256ELj32ElidEEvllNS_24const_host_device_scalarIT3_EEPKT1_PKT2_PKS2_S3_S6_S9_SB_S6_PS7_PS2_21rocsparse_index_base_SE_SE_bbb.uses_flat_scratch, 0
	.set _ZN9rocsparseL29csrgeam_fill_multipass_kernelILj256ELj32ElidEEvllNS_24const_host_device_scalarIT3_EEPKT1_PKT2_PKS2_S3_S6_S9_SB_S6_PS7_PS2_21rocsparse_index_base_SE_SE_bbb.has_dyn_sized_stack, 0
	.set _ZN9rocsparseL29csrgeam_fill_multipass_kernelILj256ELj32ElidEEvllNS_24const_host_device_scalarIT3_EEPKT1_PKT2_PKS2_S3_S6_S9_SB_S6_PS7_PS2_21rocsparse_index_base_SE_SE_bbb.has_recursion, 0
	.set _ZN9rocsparseL29csrgeam_fill_multipass_kernelILj256ELj32ElidEEvllNS_24const_host_device_scalarIT3_EEPKT1_PKT2_PKS2_S3_S6_S9_SB_S6_PS7_PS2_21rocsparse_index_base_SE_SE_bbb.has_indirect_call, 0
	.section	.AMDGPU.csdata,"",@progbits
; Kernel info:
; codeLenInByte = 1456
; TotalNumSgprs: 38
; NumVgprs: 42
; NumAgprs: 0
; TotalNumVgprs: 42
; ScratchSize: 0
; MemoryBound: 0
; FloatMode: 240
; IeeeMode: 1
; LDSByteSize: 2304 bytes/workgroup (compile time only)
; SGPRBlocks: 4
; VGPRBlocks: 5
; NumSGPRsForWavesPerEU: 38
; NumVGPRsForWavesPerEU: 42
; AccumOffset: 44
; Occupancy: 8
; WaveLimiterHint : 1
; COMPUTE_PGM_RSRC2:SCRATCH_EN: 0
; COMPUTE_PGM_RSRC2:USER_SGPR: 2
; COMPUTE_PGM_RSRC2:TRAP_HANDLER: 0
; COMPUTE_PGM_RSRC2:TGID_X_EN: 1
; COMPUTE_PGM_RSRC2:TGID_Y_EN: 0
; COMPUTE_PGM_RSRC2:TGID_Z_EN: 0
; COMPUTE_PGM_RSRC2:TIDIG_COMP_CNT: 0
; COMPUTE_PGM_RSRC3_GFX90A:ACCUM_OFFSET: 10
; COMPUTE_PGM_RSRC3_GFX90A:TG_SPLIT: 0
	.section	.text._ZN9rocsparseL29csrgeam_fill_multipass_kernelILj256ELj64ElidEEvllNS_24const_host_device_scalarIT3_EEPKT1_PKT2_PKS2_S3_S6_S9_SB_S6_PS7_PS2_21rocsparse_index_base_SE_SE_bbb,"axG",@progbits,_ZN9rocsparseL29csrgeam_fill_multipass_kernelILj256ELj64ElidEEvllNS_24const_host_device_scalarIT3_EEPKT1_PKT2_PKS2_S3_S6_S9_SB_S6_PS7_PS2_21rocsparse_index_base_SE_SE_bbb,comdat
	.globl	_ZN9rocsparseL29csrgeam_fill_multipass_kernelILj256ELj64ElidEEvllNS_24const_host_device_scalarIT3_EEPKT1_PKT2_PKS2_S3_S6_S9_SB_S6_PS7_PS2_21rocsparse_index_base_SE_SE_bbb ; -- Begin function _ZN9rocsparseL29csrgeam_fill_multipass_kernelILj256ELj64ElidEEvllNS_24const_host_device_scalarIT3_EEPKT1_PKT2_PKS2_S3_S6_S9_SB_S6_PS7_PS2_21rocsparse_index_base_SE_SE_bbb
	.p2align	8
	.type	_ZN9rocsparseL29csrgeam_fill_multipass_kernelILj256ELj64ElidEEvllNS_24const_host_device_scalarIT3_EEPKT1_PKT2_PKS2_S3_S6_S9_SB_S6_PS7_PS2_21rocsparse_index_base_SE_SE_bbb,@function
_ZN9rocsparseL29csrgeam_fill_multipass_kernelILj256ELj64ElidEEvllNS_24const_host_device_scalarIT3_EEPKT1_PKT2_PKS2_S3_S6_S9_SB_S6_PS7_PS2_21rocsparse_index_base_SE_SE_bbb: ; @_ZN9rocsparseL29csrgeam_fill_multipass_kernelILj256ELj64ElidEEvllNS_24const_host_device_scalarIT3_EEPKT1_PKT2_PKS2_S3_S6_S9_SB_S6_PS7_PS2_21rocsparse_index_base_SE_SE_bbb
; %bb.0:
	s_load_dwordx4 s[4:7], s[0:1], 0x68
	s_load_dwordx2 s[12:13], s[0:1], 0x30
	s_load_dword s3, s[0:1], 0x74
	s_load_dwordx4 s[8:11], s[0:1], 0x0
	s_load_dwordx2 s[16:17], s[0:1], 0x10
	s_waitcnt lgkmcnt(0)
	s_bitcmp1_b32 s7, 0
	s_cselect_b64 s[18:19], -1, 0
	s_bitcmp1_b32 s3, 16
	s_cselect_b64 s[14:15], -1, 0
	s_xor_b64 s[20:21], s[18:19], -1
	s_or_b64 s[20:21], s[14:15], s[20:21]
	s_and_b64 s[18:19], s[18:19], exec
	s_cselect_b32 s19, s17, 0
	s_cselect_b32 s18, s16, 0
	s_and_b64 vcc, exec, s[20:21]
	v_mov_b64_e32 v[10:11], s[18:19]
	s_cbranch_vccnz .LBB9_2
; %bb.1:
	v_mov_b64_e32 v[2:3], s[16:17]
	flat_load_dwordx2 v[10:11], v[2:3]
.LBB9_2:
	s_bitcmp1_b32 s3, 8
	s_cselect_b64 s[16:17], -1, 0
	s_xor_b64 s[18:19], s[16:17], -1
	s_or_b64 s[14:15], s[14:15], s[18:19]
	s_and_b64 s[16:17], s[16:17], exec
	s_cselect_b32 s17, s13, 0
	s_cselect_b32 s16, s12, 0
	s_and_b64 vcc, exec, s[14:15]
	v_mov_b64_e32 v[12:13], s[16:17]
	s_cbranch_vccnz .LBB9_4
; %bb.3:
	v_mov_b64_e32 v[2:3], s[12:13]
	flat_load_dwordx2 v[12:13], v[2:3]
.LBB9_4:
	s_lshl_b32 s2, s2, 2
	v_lshrrev_b32_e32 v1, 6, v0
	s_and_b32 s2, s2, 0x3fffffc
	v_or_b32_e32 v2, s2, v1
	v_mov_b32_e32 v3, 0
	v_cmp_gt_i64_e32 vcc, s[8:9], v[2:3]
	s_and_saveexec_b64 s[2:3], vcc
	s_cbranch_execz .LBB9_35
; %bb.5:
	s_load_dwordx4 s[12:15], s[0:1], 0x18
	s_load_dwordx2 s[2:3], s[0:1], 0x50
	s_load_dwordx2 s[8:9], s[0:1], 0x38
	v_lshlrev_b32_e32 v1, 3, v2
	s_waitcnt lgkmcnt(0)
	global_load_dwordx4 v[2:5], v1, s[12:13]
	global_load_dwordx4 v[6:9], v1, s[8:9]
	global_load_dwordx2 v[16:17], v1, s[2:3]
	s_waitcnt vmcnt(0)
	v_subrev_co_u32_e32 v14, vcc, s4, v2
	s_nop 1
	v_subbrev_co_u32_e32 v15, vcc, 0, v3, vcc
	v_cmp_ge_i64_e32 vcc, v[2:3], v[4:5]
	s_and_saveexec_b64 s[2:3], vcc
	s_xor_b64 s[2:3], exec, s[2:3]
	s_or_saveexec_b64 s[2:3], s[2:3]
	v_mov_b32_e32 v1, s10
	s_xor_b64 exec, exec, s[2:3]
	s_cbranch_execz .LBB9_7
; %bb.6:
	v_lshl_add_u64 v[2:3], v[14:15], 2, s[14:15]
	global_load_dword v1, v[2:3], off
	s_waitcnt vmcnt(0)
	v_subrev_u32_e32 v1, s4, v1
.LBB9_7:
	s_or_b64 exec, exec, s[2:3]
	s_load_dwordx2 s[2:3], s[0:1], 0x40
	v_subrev_co_u32_e32 v20, vcc, s5, v6
	s_mov_b32 s7, s5
	s_nop 0
	v_subbrev_co_u32_e32 v21, vcc, 0, v7, vcc
	v_cmp_ge_i64_e32 vcc, v[6:7], v[8:9]
	v_mov_b32_e32 v37, s10
	s_and_saveexec_b64 s[8:9], vcc
	s_xor_b64 s[8:9], exec, s[8:9]
; %bb.8:
	v_mov_b32_e32 v37, s10
; %bb.9:
	s_or_saveexec_b64 s[20:21], s[8:9]
	s_load_dwordx4 s[16:19], s[0:1], 0x58
	s_load_dwordx2 s[8:9], s[0:1], 0x48
	s_load_dwordx2 s[12:13], s[0:1], 0x28
	v_mov_b32_e32 v18, v37
	s_xor_b64 exec, exec, s[20:21]
	s_cbranch_execz .LBB9_11
; %bb.10:
	s_waitcnt lgkmcnt(0)
	v_lshl_add_u64 v[2:3], v[20:21], 2, s[2:3]
	global_load_dword v2, v[2:3], off
	s_waitcnt vmcnt(0)
	v_subrev_u32_e32 v18, s5, v2
.LBB9_11:
	s_or_b64 exec, exec, s[20:21]
	v_and_b32_e32 v2, 0xc0, v0
	v_or_b32_e32 v24, 0x800, v2
	v_lshlrev_b32_e32 v25, 3, v2
	v_subrev_co_u32_e32 v2, vcc, s4, v4
	v_min_i32_e32 v18, v18, v1
	s_nop 0
	v_subbrev_co_u32_e32 v3, vcc, 0, v5, vcc
	v_subrev_co_u32_e32 v4, vcc, s7, v8
	v_mbcnt_lo_u32_b32 v1, -1, 0
	s_nop 0
	v_subbrev_co_u32_e32 v5, vcc, 0, v9, vcc
	v_mbcnt_hi_u32_b32 v19, -1, v1
	v_subrev_co_u32_e32 v6, vcc, s6, v16
	v_and_b32_e32 v8, 63, v0
	v_mov_b32_e32 v9, 0
	v_and_b32_e32 v1, 64, v19
	v_subbrev_co_u32_e32 v7, vcc, 0, v17, vcc
	v_lshl_add_u64 v[16:17], v[20:21], 0, v[8:9]
	v_add_u32_e32 v20, 64, v1
	v_xor_b32_e32 v21, 32, v19
	v_cmp_lt_i32_e32 vcc, v21, v20
	v_bitop3_b32 v0, v0, 63, v0 bitop3:0xc
	s_mov_b32 s7, 0
	v_cndmask_b32_e32 v21, v19, v21, vcc
	v_lshlrev_b32_e32 v28, 2, v21
	v_xor_b32_e32 v21, 16, v19
	v_cmp_lt_i32_e32 vcc, v21, v20
	v_lshl_add_u64 v[14:15], v[14:15], 0, v[8:9]
	v_lshl_or_b32 v26, v8, 3, v25
	v_cndmask_b32_e32 v21, v19, v21, vcc
	v_lshlrev_b32_e32 v29, 2, v21
	v_xor_b32_e32 v21, 8, v19
	v_cmp_lt_i32_e32 vcc, v21, v20
	v_lshrrev_b64 v[0:1], v0, -1
	v_add_u32_e32 v27, s6, v8
	v_cndmask_b32_e32 v21, v19, v21, vcc
	v_lshlrev_b32_e32 v30, 2, v21
	v_xor_b32_e32 v21, 4, v19
	v_cmp_lt_i32_e32 vcc, v21, v20
	s_mov_b64 s[20:21], 0
	v_add_u32_e32 v34, v24, v8
	v_cndmask_b32_e32 v21, v19, v21, vcc
	v_lshlrev_b32_e32 v31, 2, v21
	v_xor_b32_e32 v21, 2, v19
	v_cmp_lt_i32_e32 vcc, v21, v20
	v_mov_b32_e32 v38, v9
	v_mov_b32_e32 v39, v9
	v_cndmask_b32_e32 v21, v19, v21, vcc
	v_lshlrev_b32_e32 v32, 2, v21
	v_xor_b32_e32 v21, 1, v19
	v_cmp_lt_i32_e32 vcc, v21, v20
	v_mov_b32_e32 v35, 1
	s_mov_b64 s[22:23], 0x100
	v_cndmask_b32_e32 v19, v19, v21, vcc
	v_lshlrev_b32_e32 v33, 2, v19
	s_mov_b64 s[24:25], 0x200
	s_branch .LBB9_13
.LBB9_12:                               ;   in Loop: Header=BB9_13 Depth=1
	s_or_b64 exec, exec, s[26:27]
	ds_bpermute_b32 v8, v28, v19
	s_bcnt1_i32_b64 s6, vcc
	v_lshl_add_u64 v[6:7], s[6:7], 0, v[6:7]
	s_waitcnt lgkmcnt(0)
	v_min_i32_e32 v8, v8, v19
	ds_bpermute_b32 v18, v29, v8
	s_waitcnt lgkmcnt(0)
	v_min_i32_e32 v8, v18, v8
	ds_bpermute_b32 v18, v30, v8
	;; [unrolled: 3-line block ×5, first 2 shown]
	s_waitcnt lgkmcnt(0)
	v_min_i32_e32 v18, v18, v8
	v_ashrrev_i32_e32 v19, 31, v18
	v_cmp_le_i64_e32 vcc, s[10:11], v[18:19]
	s_or_b64 s[20:21], vcc, s[20:21]
	s_andn2_b64 exec, exec, s[20:21]
	s_cbranch_execz .LBB9_35
.LBB9_13:                               ; =>This Loop Header: Depth=1
                                        ;     Child Loop BB9_16 Depth 2
                                        ;     Child Loop BB9_26 Depth 2
	v_cmp_lt_i64_e32 vcc, v[14:15], v[2:3]
	v_mov_b32_e32 v19, v37
	ds_write_b8 v34, v9
	ds_write_b64 v26, v[38:39]
	s_waitcnt lgkmcnt(0)
	s_and_saveexec_b64 s[26:27], vcc
	s_cbranch_execz .LBB9_23
; %bb.14:                               ;   in Loop: Header=BB9_13 Depth=1
	v_lshl_add_u64 v[20:21], v[14:15], 2, s[14:15]
	v_lshl_add_u64 v[22:23], v[14:15], 3, s[12:13]
	s_mov_b64 s[28:29], 0
	v_mov_b32_e32 v19, v37
	s_branch .LBB9_16
.LBB9_15:                               ;   in Loop: Header=BB9_16 Depth=2
	s_or_b64 exec, exec, s[30:31]
	s_and_b64 s[0:1], exec, s[0:1]
	s_or_b64 s[28:29], s[0:1], s[28:29]
	s_andn2_b64 exec, exec, s[28:29]
	s_cbranch_execz .LBB9_22
.LBB9_16:                               ;   Parent Loop BB9_13 Depth=1
                                        ; =>  This Inner Loop Header: Depth=2
	global_load_dword v8, v[20:21], off
	s_waitcnt vmcnt(0)
	v_subrev_u32_e32 v36, s4, v8
	v_sub_u32_e32 v8, v36, v18
	v_cmp_gt_u32_e32 vcc, 64, v8
	v_cmp_lt_u32_e64 s[0:1], 63, v8
	s_and_saveexec_b64 s[30:31], s[0:1]
	s_xor_b64 s[0:1], exec, s[30:31]
	s_cbranch_execnz .LBB9_19
; %bb.17:                               ;   in Loop: Header=BB9_16 Depth=2
	s_andn2_saveexec_b64 s[0:1], s[0:1]
	s_cbranch_execnz .LBB9_20
.LBB9_18:                               ;   in Loop: Header=BB9_16 Depth=2
	s_or_b64 exec, exec, s[0:1]
	s_mov_b64 s[0:1], -1
	s_and_saveexec_b64 s[30:31], vcc
	s_cbranch_execz .LBB9_15
	s_branch .LBB9_21
.LBB9_19:                               ;   in Loop: Header=BB9_16 Depth=2
	v_min_i32_e32 v19, v36, v19
                                        ; implicit-def: $vgpr8
	s_andn2_saveexec_b64 s[0:1], s[0:1]
	s_cbranch_execz .LBB9_18
.LBB9_20:                               ;   in Loop: Header=BB9_16 Depth=2
	global_load_dwordx2 v[40:41], v[22:23], off
	v_add_u32_e32 v36, v24, v8
	v_lshl_add_u32 v8, v8, 3, v25
	ds_write_b8 v36, v35
	s_waitcnt vmcnt(0)
	v_mul_f64 v[40:41], v[10:11], v[40:41]
	ds_write_b64 v8, v[40:41]
	s_or_b64 exec, exec, s[0:1]
	s_mov_b64 s[0:1], -1
	s_and_saveexec_b64 s[30:31], vcc
	s_cbranch_execz .LBB9_15
.LBB9_21:                               ;   in Loop: Header=BB9_16 Depth=2
	v_lshl_add_u64 v[14:15], v[14:15], 0, 64
	v_cmp_ge_i64_e32 vcc, v[14:15], v[2:3]
	v_lshl_add_u64 v[20:21], v[20:21], 0, s[22:23]
	v_lshl_add_u64 v[22:23], v[22:23], 0, s[24:25]
	s_orn2_b64 s[0:1], vcc, exec
	s_branch .LBB9_15
.LBB9_22:                               ;   in Loop: Header=BB9_13 Depth=1
	s_or_b64 exec, exec, s[28:29]
.LBB9_23:                               ;   in Loop: Header=BB9_13 Depth=1
	s_or_b64 exec, exec, s[26:27]
	v_cmp_lt_i64_e32 vcc, v[16:17], v[4:5]
	s_waitcnt lgkmcnt(0)
	s_and_saveexec_b64 s[26:27], vcc
	s_cbranch_execz .LBB9_33
; %bb.24:                               ;   in Loop: Header=BB9_13 Depth=1
	v_lshl_add_u64 v[20:21], v[16:17], 2, s[2:3]
	v_lshl_add_u64 v[22:23], v[16:17], 3, s[8:9]
	s_mov_b64 s[28:29], 0
	s_branch .LBB9_26
.LBB9_25:                               ;   in Loop: Header=BB9_26 Depth=2
	s_or_b64 exec, exec, s[30:31]
	s_and_b64 s[0:1], exec, s[0:1]
	s_or_b64 s[28:29], s[0:1], s[28:29]
	s_andn2_b64 exec, exec, s[28:29]
	s_cbranch_execz .LBB9_32
.LBB9_26:                               ;   Parent Loop BB9_13 Depth=1
                                        ; =>  This Inner Loop Header: Depth=2
	global_load_dword v8, v[20:21], off
	s_waitcnt vmcnt(0)
	v_subrev_u32_e32 v36, s5, v8
	v_sub_u32_e32 v8, v36, v18
	v_cmp_gt_u32_e32 vcc, 64, v8
	v_cmp_lt_u32_e64 s[0:1], 63, v8
	s_and_saveexec_b64 s[30:31], s[0:1]
	s_xor_b64 s[0:1], exec, s[30:31]
	s_cbranch_execnz .LBB9_29
; %bb.27:                               ;   in Loop: Header=BB9_26 Depth=2
	s_andn2_saveexec_b64 s[0:1], s[0:1]
	s_cbranch_execnz .LBB9_30
.LBB9_28:                               ;   in Loop: Header=BB9_26 Depth=2
	s_or_b64 exec, exec, s[0:1]
	s_mov_b64 s[0:1], -1
	s_and_saveexec_b64 s[30:31], vcc
	s_cbranch_execz .LBB9_25
	s_branch .LBB9_31
.LBB9_29:                               ;   in Loop: Header=BB9_26 Depth=2
	v_min_i32_e32 v19, v36, v19
                                        ; implicit-def: $vgpr8
	s_andn2_saveexec_b64 s[0:1], s[0:1]
	s_cbranch_execz .LBB9_28
.LBB9_30:                               ;   in Loop: Header=BB9_26 Depth=2
	global_load_dwordx2 v[40:41], v[22:23], off
	v_lshl_add_u32 v36, v8, 3, v25
	ds_read_b64 v[42:43], v36
	v_add_u32_e32 v8, v24, v8
	ds_write_b8 v8, v35
	s_waitcnt vmcnt(0) lgkmcnt(1)
	v_fmac_f64_e32 v[42:43], v[12:13], v[40:41]
	ds_write_b64 v36, v[42:43]
	s_or_b64 exec, exec, s[0:1]
	s_mov_b64 s[0:1], -1
	s_and_saveexec_b64 s[30:31], vcc
	s_cbranch_execz .LBB9_25
.LBB9_31:                               ;   in Loop: Header=BB9_26 Depth=2
	v_lshl_add_u64 v[16:17], v[16:17], 0, 64
	v_cmp_ge_i64_e32 vcc, v[16:17], v[4:5]
	v_lshl_add_u64 v[20:21], v[20:21], 0, s[22:23]
	v_lshl_add_u64 v[22:23], v[22:23], 0, s[24:25]
	s_orn2_b64 s[0:1], vcc, exec
	s_branch .LBB9_25
.LBB9_32:                               ;   in Loop: Header=BB9_13 Depth=1
	s_or_b64 exec, exec, s[28:29]
.LBB9_33:                               ;   in Loop: Header=BB9_13 Depth=1
	s_or_b64 exec, exec, s[26:27]
	s_waitcnt lgkmcnt(0)
	ds_read_u8 v8, v34
	s_waitcnt lgkmcnt(0)
	v_and_b32_e32 v20, 1, v8
	v_cmp_eq_u32_e64 s[0:1], 1, v20
	v_cmp_ne_u16_e32 vcc, 0, v8
	s_and_saveexec_b64 s[26:27], s[0:1]
	s_cbranch_execz .LBB9_12
; %bb.34:                               ;   in Loop: Header=BB9_13 Depth=1
	v_and_b32_e32 v20, vcc_lo, v0
	v_and_b32_e32 v8, vcc_hi, v1
	v_bcnt_u32_b32 v20, v20, 0
	v_bcnt_u32_b32 v8, v8, v20
	ds_read_b64 v[20:21], v26
	v_lshl_add_u64 v[22:23], v[6:7], 0, v[8:9]
	v_add_u32_e32 v18, v27, v18
	v_lshl_add_u64 v[40:41], v[22:23], 2, s[16:17]
	v_lshl_add_u64 v[22:23], v[22:23], 3, s[18:19]
	global_store_dword v[40:41], v18, off offset:-4
	s_waitcnt lgkmcnt(0)
	global_store_dwordx2 v[22:23], v[20:21], off offset:-8
	s_branch .LBB9_12
.LBB9_35:
	s_endpgm
	.section	.rodata,"a",@progbits
	.p2align	6, 0x0
	.amdhsa_kernel _ZN9rocsparseL29csrgeam_fill_multipass_kernelILj256ELj64ElidEEvllNS_24const_host_device_scalarIT3_EEPKT1_PKT2_PKS2_S3_S6_S9_SB_S6_PS7_PS2_21rocsparse_index_base_SE_SE_bbb
		.amdhsa_group_segment_fixed_size 2304
		.amdhsa_private_segment_fixed_size 0
		.amdhsa_kernarg_size 120
		.amdhsa_user_sgpr_count 2
		.amdhsa_user_sgpr_dispatch_ptr 0
		.amdhsa_user_sgpr_queue_ptr 0
		.amdhsa_user_sgpr_kernarg_segment_ptr 1
		.amdhsa_user_sgpr_dispatch_id 0
		.amdhsa_user_sgpr_kernarg_preload_length 0
		.amdhsa_user_sgpr_kernarg_preload_offset 0
		.amdhsa_user_sgpr_private_segment_size 0
		.amdhsa_uses_dynamic_stack 0
		.amdhsa_enable_private_segment 0
		.amdhsa_system_sgpr_workgroup_id_x 1
		.amdhsa_system_sgpr_workgroup_id_y 0
		.amdhsa_system_sgpr_workgroup_id_z 0
		.amdhsa_system_sgpr_workgroup_info 0
		.amdhsa_system_vgpr_workitem_id 0
		.amdhsa_next_free_vgpr 44
		.amdhsa_next_free_sgpr 32
		.amdhsa_accum_offset 44
		.amdhsa_reserve_vcc 1
		.amdhsa_float_round_mode_32 0
		.amdhsa_float_round_mode_16_64 0
		.amdhsa_float_denorm_mode_32 3
		.amdhsa_float_denorm_mode_16_64 3
		.amdhsa_dx10_clamp 1
		.amdhsa_ieee_mode 1
		.amdhsa_fp16_overflow 0
		.amdhsa_tg_split 0
		.amdhsa_exception_fp_ieee_invalid_op 0
		.amdhsa_exception_fp_denorm_src 0
		.amdhsa_exception_fp_ieee_div_zero 0
		.amdhsa_exception_fp_ieee_overflow 0
		.amdhsa_exception_fp_ieee_underflow 0
		.amdhsa_exception_fp_ieee_inexact 0
		.amdhsa_exception_int_div_zero 0
	.end_amdhsa_kernel
	.section	.text._ZN9rocsparseL29csrgeam_fill_multipass_kernelILj256ELj64ElidEEvllNS_24const_host_device_scalarIT3_EEPKT1_PKT2_PKS2_S3_S6_S9_SB_S6_PS7_PS2_21rocsparse_index_base_SE_SE_bbb,"axG",@progbits,_ZN9rocsparseL29csrgeam_fill_multipass_kernelILj256ELj64ElidEEvllNS_24const_host_device_scalarIT3_EEPKT1_PKT2_PKS2_S3_S6_S9_SB_S6_PS7_PS2_21rocsparse_index_base_SE_SE_bbb,comdat
.Lfunc_end9:
	.size	_ZN9rocsparseL29csrgeam_fill_multipass_kernelILj256ELj64ElidEEvllNS_24const_host_device_scalarIT3_EEPKT1_PKT2_PKS2_S3_S6_S9_SB_S6_PS7_PS2_21rocsparse_index_base_SE_SE_bbb, .Lfunc_end9-_ZN9rocsparseL29csrgeam_fill_multipass_kernelILj256ELj64ElidEEvllNS_24const_host_device_scalarIT3_EEPKT1_PKT2_PKS2_S3_S6_S9_SB_S6_PS7_PS2_21rocsparse_index_base_SE_SE_bbb
                                        ; -- End function
	.set _ZN9rocsparseL29csrgeam_fill_multipass_kernelILj256ELj64ElidEEvllNS_24const_host_device_scalarIT3_EEPKT1_PKT2_PKS2_S3_S6_S9_SB_S6_PS7_PS2_21rocsparse_index_base_SE_SE_bbb.num_vgpr, 44
	.set _ZN9rocsparseL29csrgeam_fill_multipass_kernelILj256ELj64ElidEEvllNS_24const_host_device_scalarIT3_EEPKT1_PKT2_PKS2_S3_S6_S9_SB_S6_PS7_PS2_21rocsparse_index_base_SE_SE_bbb.num_agpr, 0
	.set _ZN9rocsparseL29csrgeam_fill_multipass_kernelILj256ELj64ElidEEvllNS_24const_host_device_scalarIT3_EEPKT1_PKT2_PKS2_S3_S6_S9_SB_S6_PS7_PS2_21rocsparse_index_base_SE_SE_bbb.numbered_sgpr, 32
	.set _ZN9rocsparseL29csrgeam_fill_multipass_kernelILj256ELj64ElidEEvllNS_24const_host_device_scalarIT3_EEPKT1_PKT2_PKS2_S3_S6_S9_SB_S6_PS7_PS2_21rocsparse_index_base_SE_SE_bbb.num_named_barrier, 0
	.set _ZN9rocsparseL29csrgeam_fill_multipass_kernelILj256ELj64ElidEEvllNS_24const_host_device_scalarIT3_EEPKT1_PKT2_PKS2_S3_S6_S9_SB_S6_PS7_PS2_21rocsparse_index_base_SE_SE_bbb.private_seg_size, 0
	.set _ZN9rocsparseL29csrgeam_fill_multipass_kernelILj256ELj64ElidEEvllNS_24const_host_device_scalarIT3_EEPKT1_PKT2_PKS2_S3_S6_S9_SB_S6_PS7_PS2_21rocsparse_index_base_SE_SE_bbb.uses_vcc, 1
	.set _ZN9rocsparseL29csrgeam_fill_multipass_kernelILj256ELj64ElidEEvllNS_24const_host_device_scalarIT3_EEPKT1_PKT2_PKS2_S3_S6_S9_SB_S6_PS7_PS2_21rocsparse_index_base_SE_SE_bbb.uses_flat_scratch, 0
	.set _ZN9rocsparseL29csrgeam_fill_multipass_kernelILj256ELj64ElidEEvllNS_24const_host_device_scalarIT3_EEPKT1_PKT2_PKS2_S3_S6_S9_SB_S6_PS7_PS2_21rocsparse_index_base_SE_SE_bbb.has_dyn_sized_stack, 0
	.set _ZN9rocsparseL29csrgeam_fill_multipass_kernelILj256ELj64ElidEEvllNS_24const_host_device_scalarIT3_EEPKT1_PKT2_PKS2_S3_S6_S9_SB_S6_PS7_PS2_21rocsparse_index_base_SE_SE_bbb.has_recursion, 0
	.set _ZN9rocsparseL29csrgeam_fill_multipass_kernelILj256ELj64ElidEEvllNS_24const_host_device_scalarIT3_EEPKT1_PKT2_PKS2_S3_S6_S9_SB_S6_PS7_PS2_21rocsparse_index_base_SE_SE_bbb.has_indirect_call, 0
	.section	.AMDGPU.csdata,"",@progbits
; Kernel info:
; codeLenInByte = 1500
; TotalNumSgprs: 38
; NumVgprs: 44
; NumAgprs: 0
; TotalNumVgprs: 44
; ScratchSize: 0
; MemoryBound: 0
; FloatMode: 240
; IeeeMode: 1
; LDSByteSize: 2304 bytes/workgroup (compile time only)
; SGPRBlocks: 4
; VGPRBlocks: 5
; NumSGPRsForWavesPerEU: 38
; NumVGPRsForWavesPerEU: 44
; AccumOffset: 44
; Occupancy: 8
; WaveLimiterHint : 1
; COMPUTE_PGM_RSRC2:SCRATCH_EN: 0
; COMPUTE_PGM_RSRC2:USER_SGPR: 2
; COMPUTE_PGM_RSRC2:TRAP_HANDLER: 0
; COMPUTE_PGM_RSRC2:TGID_X_EN: 1
; COMPUTE_PGM_RSRC2:TGID_Y_EN: 0
; COMPUTE_PGM_RSRC2:TGID_Z_EN: 0
; COMPUTE_PGM_RSRC2:TIDIG_COMP_CNT: 0
; COMPUTE_PGM_RSRC3_GFX90A:ACCUM_OFFSET: 10
; COMPUTE_PGM_RSRC3_GFX90A:TG_SPLIT: 0
	.section	.text._ZN9rocsparseL29csrgeam_fill_multipass_kernelILj256ELj32ElldEEvllNS_24const_host_device_scalarIT3_EEPKT1_PKT2_PKS2_S3_S6_S9_SB_S6_PS7_PS2_21rocsparse_index_base_SE_SE_bbb,"axG",@progbits,_ZN9rocsparseL29csrgeam_fill_multipass_kernelILj256ELj32ElldEEvllNS_24const_host_device_scalarIT3_EEPKT1_PKT2_PKS2_S3_S6_S9_SB_S6_PS7_PS2_21rocsparse_index_base_SE_SE_bbb,comdat
	.globl	_ZN9rocsparseL29csrgeam_fill_multipass_kernelILj256ELj32ElldEEvllNS_24const_host_device_scalarIT3_EEPKT1_PKT2_PKS2_S3_S6_S9_SB_S6_PS7_PS2_21rocsparse_index_base_SE_SE_bbb ; -- Begin function _ZN9rocsparseL29csrgeam_fill_multipass_kernelILj256ELj32ElldEEvllNS_24const_host_device_scalarIT3_EEPKT1_PKT2_PKS2_S3_S6_S9_SB_S6_PS7_PS2_21rocsparse_index_base_SE_SE_bbb
	.p2align	8
	.type	_ZN9rocsparseL29csrgeam_fill_multipass_kernelILj256ELj32ElldEEvllNS_24const_host_device_scalarIT3_EEPKT1_PKT2_PKS2_S3_S6_S9_SB_S6_PS7_PS2_21rocsparse_index_base_SE_SE_bbb,@function
_ZN9rocsparseL29csrgeam_fill_multipass_kernelILj256ELj32ElldEEvllNS_24const_host_device_scalarIT3_EEPKT1_PKT2_PKS2_S3_S6_S9_SB_S6_PS7_PS2_21rocsparse_index_base_SE_SE_bbb: ; @_ZN9rocsparseL29csrgeam_fill_multipass_kernelILj256ELj32ElldEEvllNS_24const_host_device_scalarIT3_EEPKT1_PKT2_PKS2_S3_S6_S9_SB_S6_PS7_PS2_21rocsparse_index_base_SE_SE_bbb
; %bb.0:
	s_load_dwordx4 s[4:7], s[0:1], 0x68
	s_load_dwordx2 s[12:13], s[0:1], 0x30
	s_load_dword s3, s[0:1], 0x74
	s_load_dwordx4 s[8:11], s[0:1], 0x0
	s_load_dwordx2 s[16:17], s[0:1], 0x10
	s_waitcnt lgkmcnt(0)
	s_bitcmp1_b32 s7, 0
	s_cselect_b64 s[18:19], -1, 0
	s_bitcmp1_b32 s3, 16
	s_cselect_b64 s[14:15], -1, 0
	s_xor_b64 s[20:21], s[18:19], -1
	s_or_b64 s[20:21], s[14:15], s[20:21]
	s_and_b64 s[18:19], s[18:19], exec
	s_cselect_b32 s19, s17, 0
	s_cselect_b32 s18, s16, 0
	s_and_b64 vcc, exec, s[20:21]
	v_mov_b64_e32 v[10:11], s[18:19]
	s_cbranch_vccnz .LBB10_2
; %bb.1:
	v_mov_b64_e32 v[2:3], s[16:17]
	flat_load_dwordx2 v[10:11], v[2:3]
.LBB10_2:
	s_bitcmp1_b32 s3, 8
	s_cselect_b64 s[16:17], -1, 0
	s_xor_b64 s[18:19], s[16:17], -1
	s_or_b64 s[14:15], s[14:15], s[18:19]
	s_and_b64 s[16:17], s[16:17], exec
	s_cselect_b32 s17, s13, 0
	s_cselect_b32 s16, s12, 0
	s_and_b64 vcc, exec, s[14:15]
	v_mov_b64_e32 v[12:13], s[16:17]
	s_cbranch_vccnz .LBB10_4
; %bb.3:
	v_mov_b64_e32 v[2:3], s[12:13]
	flat_load_dwordx2 v[12:13], v[2:3]
.LBB10_4:
	s_lshl_b32 s2, s2, 3
	v_lshrrev_b32_e32 v1, 5, v0
	s_and_b32 s2, s2, 0x7fffff8
	v_or_b32_e32 v2, s2, v1
	v_mov_b32_e32 v3, 0
	v_cmp_gt_i64_e32 vcc, s[8:9], v[2:3]
	s_and_saveexec_b64 s[2:3], vcc
	s_cbranch_execz .LBB10_33
; %bb.5:
	s_load_dwordx4 s[12:15], s[0:1], 0x18
	s_load_dwordx2 s[2:3], s[0:1], 0x50
	s_load_dwordx2 s[8:9], s[0:1], 0x38
	v_lshlrev_b32_e32 v1, 3, v2
	v_mov_b64_e32 v[18:19], s[10:11]
	s_waitcnt lgkmcnt(0)
	global_load_dwordx4 v[2:5], v1, s[12:13]
	global_load_dwordx4 v[6:9], v1, s[8:9]
	global_load_dwordx2 v[16:17], v1, s[2:3]
	s_waitcnt vmcnt(0)
	v_subrev_co_u32_e32 v14, vcc, s4, v2
	s_nop 1
	v_subbrev_co_u32_e32 v15, vcc, 0, v3, vcc
	v_cmp_lt_i64_e32 vcc, v[2:3], v[4:5]
	s_and_saveexec_b64 s[2:3], vcc
	s_cbranch_execz .LBB10_7
; %bb.6:
	v_lshl_add_u64 v[2:3], v[14:15], 3, s[14:15]
	global_load_dwordx2 v[2:3], v[2:3], off
	s_waitcnt vmcnt(0)
	v_subrev_co_u32_e32 v18, vcc, s4, v2
	s_nop 1
	v_subbrev_co_u32_e32 v19, vcc, 0, v3, vcc
.LBB10_7:
	s_or_b64 exec, exec, s[2:3]
	s_load_dwordx2 s[2:3], s[0:1], 0x40
	v_subrev_co_u32_e32 v20, vcc, s5, v6
	s_mov_b32 s30, s5
	s_nop 0
	v_subbrev_co_u32_e32 v21, vcc, 0, v7, vcc
	v_cmp_lt_i64_e32 vcc, v[6:7], v[8:9]
	v_mov_b64_e32 v[22:23], s[10:11]
	s_and_saveexec_b64 s[8:9], vcc
	s_cbranch_execz .LBB10_9
; %bb.8:
	s_waitcnt lgkmcnt(0)
	v_lshl_add_u64 v[2:3], v[20:21], 3, s[2:3]
	global_load_dwordx2 v[2:3], v[2:3], off
	s_waitcnt vmcnt(0)
	v_subrev_co_u32_e32 v22, vcc, s30, v2
	s_nop 1
	v_subbrev_co_u32_e32 v23, vcc, 0, v3, vcc
.LBB10_9:
	s_or_b64 exec, exec, s[8:9]
	v_subrev_co_u32_e32 v2, vcc, s4, v4
	v_and_b32_e32 v1, 0xe0, v0
	s_nop 0
	v_subbrev_co_u32_e32 v3, vcc, 0, v5, vcc
	v_subrev_co_u32_e32 v4, vcc, s30, v8
	v_or_b32_e32 v30, 0x800, v1
	s_nop 0
	v_subbrev_co_u32_e32 v5, vcc, 0, v9, vcc
	v_lshlrev_b32_e32 v31, 3, v1
	v_subrev_co_u32_e32 v6, vcc, s6, v16
	v_and_b32_e32 v8, 31, v0
	v_mov_b32_e32 v9, 0
	v_mbcnt_lo_u32_b32 v1, -1, 0
	v_subbrev_co_u32_e32 v7, vcc, 0, v17, vcc
	v_lshl_add_u64 v[16:17], v[20:21], 0, v[8:9]
	v_mbcnt_hi_u32_b32 v20, -1, v1
	v_cmp_lt_i64_e32 vcc, v[22:23], v[18:19]
	v_and_b32_e32 v1, 64, v20
	v_add_u32_e32 v21, 64, v1
	v_cndmask_b32_e32 v18, v18, v22, vcc
	v_xor_b32_e32 v22, 16, v20
	v_cndmask_b32_e32 v19, v19, v23, vcc
	v_cmp_lt_i32_e32 vcc, v22, v21
	s_load_dwordx4 s[16:19], s[0:1], 0x58
	s_load_dwordx2 s[8:9], s[0:1], 0x48
	s_load_dwordx2 s[12:13], s[0:1], 0x28
	v_cndmask_b32_e32 v22, v20, v22, vcc
	v_lshlrev_b32_e32 v34, 2, v22
	v_xor_b32_e32 v22, 8, v20
	v_cmp_lt_i32_e32 vcc, v22, v21
	s_mov_b32 s7, 0
	v_bitop3_b32 v0, v0, 31, v0 bitop3:0xc
	v_cndmask_b32_e32 v22, v20, v22, vcc
	v_lshlrev_b32_e32 v35, 2, v22
	v_xor_b32_e32 v22, 4, v20
	v_cmp_lt_i32_e32 vcc, v22, v21
	v_lshl_add_u64 v[14:15], v[14:15], 0, v[8:9]
	v_lshl_or_b32 v32, v8, 3, v31
	v_cndmask_b32_e32 v22, v20, v22, vcc
	v_lshlrev_b32_e32 v36, 2, v22
	v_xor_b32_e32 v22, 2, v20
	v_cmp_lt_i32_e32 vcc, v22, v21
	v_lshrrev_b32_e64 v33, v0, -1
	v_lshl_add_u64 v[0:1], s[6:7], 0, v[8:9]
	v_cndmask_b32_e32 v22, v20, v22, vcc
	v_lshlrev_b32_e32 v37, 2, v22
	v_xor_b32_e32 v22, 1, v20
	v_cmp_lt_i32_e32 vcc, v22, v21
	s_mov_b64 s[20:21], 0
	v_add_u32_e32 v39, v30, v8
	v_cndmask_b32_e32 v20, v20, v22, vcc
	v_lshlrev_b32_e32 v38, 2, v20
	v_mov_b32_e32 v42, v9
	v_mov_b32_e32 v43, v9
	;; [unrolled: 1-line block ×3, first 2 shown]
	s_mov_b64 s[22:23], 0x100
	s_branch .LBB10_11
.LBB10_10:                              ;   in Loop: Header=BB10_11 Depth=1
	s_or_b64 exec, exec, s[24:25]
	ds_bpermute_b32 v18, v34, v20
	ds_bpermute_b32 v19, v34, v21
	s_bcnt1_i32_b64 s6, vcc
	v_lshl_add_u64 v[6:7], s[6:7], 0, v[6:7]
	s_waitcnt lgkmcnt(0)
	v_cmp_lt_i64_e64 s[0:1], v[18:19], v[20:21]
	s_nop 1
	v_cndmask_b32_e64 v19, v21, v19, s[0:1]
	v_cndmask_b32_e64 v18, v20, v18, s[0:1]
	ds_bpermute_b32 v21, v35, v19
	ds_bpermute_b32 v20, v35, v18
	s_waitcnt lgkmcnt(0)
	v_cmp_lt_i64_e64 s[0:1], v[20:21], v[18:19]
	s_nop 1
	v_cndmask_b32_e64 v19, v19, v21, s[0:1]
	v_cndmask_b32_e64 v18, v18, v20, s[0:1]
	ds_bpermute_b32 v21, v36, v19
	ds_bpermute_b32 v20, v36, v18
	;; [unrolled: 7-line block ×4, first 2 shown]
	s_waitcnt lgkmcnt(0)
	v_cmp_lt_i64_e32 vcc, v[20:21], v[18:19]
	s_nop 1
	v_cndmask_b32_e32 v19, v19, v21, vcc
	v_cndmask_b32_e32 v18, v18, v20, vcc
	v_cmp_le_i64_e32 vcc, s[10:11], v[18:19]
	s_or_b64 s[20:21], vcc, s[20:21]
	s_andn2_b64 exec, exec, s[20:21]
	s_cbranch_execz .LBB10_33
.LBB10_11:                              ; =>This Loop Header: Depth=1
                                        ;     Child Loop BB10_14 Depth 2
                                        ;     Child Loop BB10_24 Depth 2
	v_cmp_lt_i64_e32 vcc, v[14:15], v[2:3]
	v_mov_b64_e32 v[20:21], s[10:11]
	ds_write_b8 v39, v9
	ds_write_b64 v32, v[42:43]
	s_waitcnt lgkmcnt(0)
	s_and_saveexec_b64 s[24:25], vcc
	s_cbranch_execz .LBB10_21
; %bb.12:                               ;   in Loop: Header=BB10_11 Depth=1
	v_lshlrev_b64 v[20:21], 3, v[14:15]
	v_lshl_add_u64 v[22:23], s[14:15], 0, v[20:21]
	v_lshl_add_u64 v[24:25], s[12:13], 0, v[20:21]
	s_mov_b64 s[26:27], 0
	v_mov_b64_e32 v[20:21], s[10:11]
	s_branch .LBB10_14
.LBB10_13:                              ;   in Loop: Header=BB10_14 Depth=2
	s_or_b64 exec, exec, s[28:29]
	s_and_b64 s[0:1], exec, s[0:1]
	s_or_b64 s[26:27], s[0:1], s[26:27]
	s_andn2_b64 exec, exec, s[26:27]
	s_cbranch_execz .LBB10_20
.LBB10_14:                              ;   Parent Loop BB10_11 Depth=1
                                        ; =>  This Inner Loop Header: Depth=2
	global_load_dwordx2 v[26:27], v[22:23], off
	s_waitcnt vmcnt(0)
	v_subrev_co_u32_e32 v28, vcc, s4, v26
	s_nop 1
	v_subbrev_co_u32_e32 v29, vcc, 0, v27, vcc
	v_sub_co_u32_e32 v26, vcc, v28, v18
	s_nop 1
	v_subb_co_u32_e32 v27, vcc, v29, v19, vcc
	v_cmp_gt_i64_e32 vcc, 32, v[26:27]
	v_cmp_lt_i64_e64 s[0:1], 31, v[26:27]
	s_and_saveexec_b64 s[28:29], s[0:1]
	s_xor_b64 s[28:29], exec, s[28:29]
	s_cbranch_execnz .LBB10_17
; %bb.15:                               ;   in Loop: Header=BB10_14 Depth=2
	s_andn2_saveexec_b64 s[0:1], s[28:29]
	s_cbranch_execnz .LBB10_18
.LBB10_16:                              ;   in Loop: Header=BB10_14 Depth=2
	s_or_b64 exec, exec, s[0:1]
	s_mov_b64 s[0:1], -1
	s_and_saveexec_b64 s[28:29], vcc
	s_cbranch_execz .LBB10_13
	s_branch .LBB10_19
.LBB10_17:                              ;   in Loop: Header=BB10_14 Depth=2
	v_cmp_lt_i64_e64 s[0:1], v[28:29], v[20:21]
                                        ; implicit-def: $vgpr26
	s_nop 1
	v_cndmask_b32_e64 v21, v21, v29, s[0:1]
	v_cndmask_b32_e64 v20, v20, v28, s[0:1]
	s_andn2_saveexec_b64 s[0:1], s[28:29]
	s_cbranch_execz .LBB10_16
.LBB10_18:                              ;   in Loop: Header=BB10_14 Depth=2
	global_load_dwordx2 v[28:29], v[24:25], off
	v_add_u32_e32 v8, v30, v26
	ds_write_b8 v8, v40
	v_lshl_add_u32 v8, v26, 3, v31
	s_waitcnt vmcnt(0)
	v_mul_f64 v[28:29], v[10:11], v[28:29]
	ds_write_b64 v8, v[28:29]
	s_or_b64 exec, exec, s[0:1]
	s_mov_b64 s[0:1], -1
	s_and_saveexec_b64 s[28:29], vcc
	s_cbranch_execz .LBB10_13
.LBB10_19:                              ;   in Loop: Header=BB10_14 Depth=2
	v_lshl_add_u64 v[14:15], v[14:15], 0, 32
	v_cmp_ge_i64_e32 vcc, v[14:15], v[2:3]
	v_lshl_add_u64 v[22:23], v[22:23], 0, s[22:23]
	v_lshl_add_u64 v[24:25], v[24:25], 0, s[22:23]
	s_orn2_b64 s[0:1], vcc, exec
	s_branch .LBB10_13
.LBB10_20:                              ;   in Loop: Header=BB10_11 Depth=1
	s_or_b64 exec, exec, s[26:27]
.LBB10_21:                              ;   in Loop: Header=BB10_11 Depth=1
	s_or_b64 exec, exec, s[24:25]
	v_cmp_lt_i64_e32 vcc, v[16:17], v[4:5]
	s_waitcnt lgkmcnt(0)
	s_and_saveexec_b64 s[24:25], vcc
	s_cbranch_execz .LBB10_31
; %bb.22:                               ;   in Loop: Header=BB10_11 Depth=1
	v_lshlrev_b64 v[24:25], 3, v[16:17]
	v_lshl_add_u64 v[22:23], s[2:3], 0, v[24:25]
	v_lshl_add_u64 v[24:25], s[8:9], 0, v[24:25]
	s_mov_b64 s[26:27], 0
	s_branch .LBB10_24
.LBB10_23:                              ;   in Loop: Header=BB10_24 Depth=2
	s_or_b64 exec, exec, s[28:29]
	s_and_b64 s[0:1], exec, s[0:1]
	s_or_b64 s[26:27], s[0:1], s[26:27]
	s_andn2_b64 exec, exec, s[26:27]
	s_cbranch_execz .LBB10_30
.LBB10_24:                              ;   Parent Loop BB10_11 Depth=1
                                        ; =>  This Inner Loop Header: Depth=2
	global_load_dwordx2 v[26:27], v[22:23], off
	s_waitcnt vmcnt(0)
	v_subrev_co_u32_e32 v28, vcc, s30, v26
	s_nop 1
	v_subbrev_co_u32_e32 v29, vcc, 0, v27, vcc
	v_sub_co_u32_e32 v26, vcc, v28, v18
	s_nop 1
	v_subb_co_u32_e32 v27, vcc, v29, v19, vcc
	v_cmp_gt_i64_e32 vcc, 32, v[26:27]
	v_cmp_lt_i64_e64 s[0:1], 31, v[26:27]
	s_and_saveexec_b64 s[28:29], s[0:1]
	s_xor_b64 s[28:29], exec, s[28:29]
	s_cbranch_execnz .LBB10_27
; %bb.25:                               ;   in Loop: Header=BB10_24 Depth=2
	s_andn2_saveexec_b64 s[0:1], s[28:29]
	s_cbranch_execnz .LBB10_28
.LBB10_26:                              ;   in Loop: Header=BB10_24 Depth=2
	s_or_b64 exec, exec, s[0:1]
	s_mov_b64 s[0:1], -1
	s_and_saveexec_b64 s[28:29], vcc
	s_cbranch_execz .LBB10_23
	s_branch .LBB10_29
.LBB10_27:                              ;   in Loop: Header=BB10_24 Depth=2
	v_cmp_lt_i64_e64 s[0:1], v[28:29], v[20:21]
                                        ; implicit-def: $vgpr26
	s_nop 1
	v_cndmask_b32_e64 v21, v21, v29, s[0:1]
	v_cndmask_b32_e64 v20, v20, v28, s[0:1]
	s_andn2_saveexec_b64 s[0:1], s[28:29]
	s_cbranch_execz .LBB10_26
.LBB10_28:                              ;   in Loop: Header=BB10_24 Depth=2
	global_load_dwordx2 v[28:29], v[24:25], off
	v_lshl_add_u32 v8, v26, 3, v31
	ds_read_b64 v[44:45], v8
	v_add_u32_e32 v26, v30, v26
	ds_write_b8 v26, v40
	s_waitcnt vmcnt(0) lgkmcnt(1)
	v_fmac_f64_e32 v[44:45], v[12:13], v[28:29]
	ds_write_b64 v8, v[44:45]
	s_or_b64 exec, exec, s[0:1]
	s_mov_b64 s[0:1], -1
	s_and_saveexec_b64 s[28:29], vcc
	s_cbranch_execz .LBB10_23
.LBB10_29:                              ;   in Loop: Header=BB10_24 Depth=2
	v_lshl_add_u64 v[16:17], v[16:17], 0, 32
	v_cmp_ge_i64_e32 vcc, v[16:17], v[4:5]
	v_lshl_add_u64 v[22:23], v[22:23], 0, s[22:23]
	v_lshl_add_u64 v[24:25], v[24:25], 0, s[22:23]
	s_orn2_b64 s[0:1], vcc, exec
	s_branch .LBB10_23
.LBB10_30:                              ;   in Loop: Header=BB10_11 Depth=1
	s_or_b64 exec, exec, s[26:27]
.LBB10_31:                              ;   in Loop: Header=BB10_11 Depth=1
	s_or_b64 exec, exec, s[24:25]
	s_waitcnt lgkmcnt(0)
	ds_read_u8 v8, v39
	s_waitcnt lgkmcnt(0)
	v_and_b32_e32 v22, 1, v8
	v_cmp_eq_u32_e64 s[0:1], 1, v22
	v_cmp_ne_u16_e32 vcc, 0, v8
	s_and_saveexec_b64 s[24:25], s[0:1]
	s_cbranch_execz .LBB10_10
; %bb.32:                               ;   in Loop: Header=BB10_11 Depth=1
	v_and_b32_e32 v8, vcc_lo, v33
	v_bcnt_u32_b32 v8, v8, 0
	ds_read_b64 v[24:25], v32
	v_lshl_add_u64 v[22:23], v[6:7], 0, v[8:9]
	v_lshlrev_b64 v[22:23], 3, v[22:23]
	v_lshl_add_u64 v[18:19], v[0:1], 0, v[18:19]
	v_lshl_add_u64 v[26:27], s[16:17], 0, v[22:23]
	global_store_dwordx2 v[26:27], v[18:19], off offset:-8
	v_lshl_add_u64 v[18:19], s[18:19], 0, v[22:23]
	s_waitcnt lgkmcnt(0)
	global_store_dwordx2 v[18:19], v[24:25], off offset:-8
	s_branch .LBB10_10
.LBB10_33:
	s_endpgm
	.section	.rodata,"a",@progbits
	.p2align	6, 0x0
	.amdhsa_kernel _ZN9rocsparseL29csrgeam_fill_multipass_kernelILj256ELj32ElldEEvllNS_24const_host_device_scalarIT3_EEPKT1_PKT2_PKS2_S3_S6_S9_SB_S6_PS7_PS2_21rocsparse_index_base_SE_SE_bbb
		.amdhsa_group_segment_fixed_size 2304
		.amdhsa_private_segment_fixed_size 0
		.amdhsa_kernarg_size 120
		.amdhsa_user_sgpr_count 2
		.amdhsa_user_sgpr_dispatch_ptr 0
		.amdhsa_user_sgpr_queue_ptr 0
		.amdhsa_user_sgpr_kernarg_segment_ptr 1
		.amdhsa_user_sgpr_dispatch_id 0
		.amdhsa_user_sgpr_kernarg_preload_length 0
		.amdhsa_user_sgpr_kernarg_preload_offset 0
		.amdhsa_user_sgpr_private_segment_size 0
		.amdhsa_uses_dynamic_stack 0
		.amdhsa_enable_private_segment 0
		.amdhsa_system_sgpr_workgroup_id_x 1
		.amdhsa_system_sgpr_workgroup_id_y 0
		.amdhsa_system_sgpr_workgroup_id_z 0
		.amdhsa_system_sgpr_workgroup_info 0
		.amdhsa_system_vgpr_workitem_id 0
		.amdhsa_next_free_vgpr 46
		.amdhsa_next_free_sgpr 31
		.amdhsa_accum_offset 48
		.amdhsa_reserve_vcc 1
		.amdhsa_float_round_mode_32 0
		.amdhsa_float_round_mode_16_64 0
		.amdhsa_float_denorm_mode_32 3
		.amdhsa_float_denorm_mode_16_64 3
		.amdhsa_dx10_clamp 1
		.amdhsa_ieee_mode 1
		.amdhsa_fp16_overflow 0
		.amdhsa_tg_split 0
		.amdhsa_exception_fp_ieee_invalid_op 0
		.amdhsa_exception_fp_denorm_src 0
		.amdhsa_exception_fp_ieee_div_zero 0
		.amdhsa_exception_fp_ieee_overflow 0
		.amdhsa_exception_fp_ieee_underflow 0
		.amdhsa_exception_fp_ieee_inexact 0
		.amdhsa_exception_int_div_zero 0
	.end_amdhsa_kernel
	.section	.text._ZN9rocsparseL29csrgeam_fill_multipass_kernelILj256ELj32ElldEEvllNS_24const_host_device_scalarIT3_EEPKT1_PKT2_PKS2_S3_S6_S9_SB_S6_PS7_PS2_21rocsparse_index_base_SE_SE_bbb,"axG",@progbits,_ZN9rocsparseL29csrgeam_fill_multipass_kernelILj256ELj32ElldEEvllNS_24const_host_device_scalarIT3_EEPKT1_PKT2_PKS2_S3_S6_S9_SB_S6_PS7_PS2_21rocsparse_index_base_SE_SE_bbb,comdat
.Lfunc_end10:
	.size	_ZN9rocsparseL29csrgeam_fill_multipass_kernelILj256ELj32ElldEEvllNS_24const_host_device_scalarIT3_EEPKT1_PKT2_PKS2_S3_S6_S9_SB_S6_PS7_PS2_21rocsparse_index_base_SE_SE_bbb, .Lfunc_end10-_ZN9rocsparseL29csrgeam_fill_multipass_kernelILj256ELj32ElldEEvllNS_24const_host_device_scalarIT3_EEPKT1_PKT2_PKS2_S3_S6_S9_SB_S6_PS7_PS2_21rocsparse_index_base_SE_SE_bbb
                                        ; -- End function
	.set _ZN9rocsparseL29csrgeam_fill_multipass_kernelILj256ELj32ElldEEvllNS_24const_host_device_scalarIT3_EEPKT1_PKT2_PKS2_S3_S6_S9_SB_S6_PS7_PS2_21rocsparse_index_base_SE_SE_bbb.num_vgpr, 46
	.set _ZN9rocsparseL29csrgeam_fill_multipass_kernelILj256ELj32ElldEEvllNS_24const_host_device_scalarIT3_EEPKT1_PKT2_PKS2_S3_S6_S9_SB_S6_PS7_PS2_21rocsparse_index_base_SE_SE_bbb.num_agpr, 0
	.set _ZN9rocsparseL29csrgeam_fill_multipass_kernelILj256ELj32ElldEEvllNS_24const_host_device_scalarIT3_EEPKT1_PKT2_PKS2_S3_S6_S9_SB_S6_PS7_PS2_21rocsparse_index_base_SE_SE_bbb.numbered_sgpr, 31
	.set _ZN9rocsparseL29csrgeam_fill_multipass_kernelILj256ELj32ElldEEvllNS_24const_host_device_scalarIT3_EEPKT1_PKT2_PKS2_S3_S6_S9_SB_S6_PS7_PS2_21rocsparse_index_base_SE_SE_bbb.num_named_barrier, 0
	.set _ZN9rocsparseL29csrgeam_fill_multipass_kernelILj256ELj32ElldEEvllNS_24const_host_device_scalarIT3_EEPKT1_PKT2_PKS2_S3_S6_S9_SB_S6_PS7_PS2_21rocsparse_index_base_SE_SE_bbb.private_seg_size, 0
	.set _ZN9rocsparseL29csrgeam_fill_multipass_kernelILj256ELj32ElldEEvllNS_24const_host_device_scalarIT3_EEPKT1_PKT2_PKS2_S3_S6_S9_SB_S6_PS7_PS2_21rocsparse_index_base_SE_SE_bbb.uses_vcc, 1
	.set _ZN9rocsparseL29csrgeam_fill_multipass_kernelILj256ELj32ElldEEvllNS_24const_host_device_scalarIT3_EEPKT1_PKT2_PKS2_S3_S6_S9_SB_S6_PS7_PS2_21rocsparse_index_base_SE_SE_bbb.uses_flat_scratch, 0
	.set _ZN9rocsparseL29csrgeam_fill_multipass_kernelILj256ELj32ElldEEvllNS_24const_host_device_scalarIT3_EEPKT1_PKT2_PKS2_S3_S6_S9_SB_S6_PS7_PS2_21rocsparse_index_base_SE_SE_bbb.has_dyn_sized_stack, 0
	.set _ZN9rocsparseL29csrgeam_fill_multipass_kernelILj256ELj32ElldEEvllNS_24const_host_device_scalarIT3_EEPKT1_PKT2_PKS2_S3_S6_S9_SB_S6_PS7_PS2_21rocsparse_index_base_SE_SE_bbb.has_recursion, 0
	.set _ZN9rocsparseL29csrgeam_fill_multipass_kernelILj256ELj32ElldEEvllNS_24const_host_device_scalarIT3_EEPKT1_PKT2_PKS2_S3_S6_S9_SB_S6_PS7_PS2_21rocsparse_index_base_SE_SE_bbb.has_indirect_call, 0
	.section	.AMDGPU.csdata,"",@progbits
; Kernel info:
; codeLenInByte = 1696
; TotalNumSgprs: 37
; NumVgprs: 46
; NumAgprs: 0
; TotalNumVgprs: 46
; ScratchSize: 0
; MemoryBound: 0
; FloatMode: 240
; IeeeMode: 1
; LDSByteSize: 2304 bytes/workgroup (compile time only)
; SGPRBlocks: 4
; VGPRBlocks: 5
; NumSGPRsForWavesPerEU: 37
; NumVGPRsForWavesPerEU: 46
; AccumOffset: 48
; Occupancy: 8
; WaveLimiterHint : 1
; COMPUTE_PGM_RSRC2:SCRATCH_EN: 0
; COMPUTE_PGM_RSRC2:USER_SGPR: 2
; COMPUTE_PGM_RSRC2:TRAP_HANDLER: 0
; COMPUTE_PGM_RSRC2:TGID_X_EN: 1
; COMPUTE_PGM_RSRC2:TGID_Y_EN: 0
; COMPUTE_PGM_RSRC2:TGID_Z_EN: 0
; COMPUTE_PGM_RSRC2:TIDIG_COMP_CNT: 0
; COMPUTE_PGM_RSRC3_GFX90A:ACCUM_OFFSET: 11
; COMPUTE_PGM_RSRC3_GFX90A:TG_SPLIT: 0
	.section	.text._ZN9rocsparseL29csrgeam_fill_multipass_kernelILj256ELj64ElldEEvllNS_24const_host_device_scalarIT3_EEPKT1_PKT2_PKS2_S3_S6_S9_SB_S6_PS7_PS2_21rocsparse_index_base_SE_SE_bbb,"axG",@progbits,_ZN9rocsparseL29csrgeam_fill_multipass_kernelILj256ELj64ElldEEvllNS_24const_host_device_scalarIT3_EEPKT1_PKT2_PKS2_S3_S6_S9_SB_S6_PS7_PS2_21rocsparse_index_base_SE_SE_bbb,comdat
	.globl	_ZN9rocsparseL29csrgeam_fill_multipass_kernelILj256ELj64ElldEEvllNS_24const_host_device_scalarIT3_EEPKT1_PKT2_PKS2_S3_S6_S9_SB_S6_PS7_PS2_21rocsparse_index_base_SE_SE_bbb ; -- Begin function _ZN9rocsparseL29csrgeam_fill_multipass_kernelILj256ELj64ElldEEvllNS_24const_host_device_scalarIT3_EEPKT1_PKT2_PKS2_S3_S6_S9_SB_S6_PS7_PS2_21rocsparse_index_base_SE_SE_bbb
	.p2align	8
	.type	_ZN9rocsparseL29csrgeam_fill_multipass_kernelILj256ELj64ElldEEvllNS_24const_host_device_scalarIT3_EEPKT1_PKT2_PKS2_S3_S6_S9_SB_S6_PS7_PS2_21rocsparse_index_base_SE_SE_bbb,@function
_ZN9rocsparseL29csrgeam_fill_multipass_kernelILj256ELj64ElldEEvllNS_24const_host_device_scalarIT3_EEPKT1_PKT2_PKS2_S3_S6_S9_SB_S6_PS7_PS2_21rocsparse_index_base_SE_SE_bbb: ; @_ZN9rocsparseL29csrgeam_fill_multipass_kernelILj256ELj64ElldEEvllNS_24const_host_device_scalarIT3_EEPKT1_PKT2_PKS2_S3_S6_S9_SB_S6_PS7_PS2_21rocsparse_index_base_SE_SE_bbb
; %bb.0:
	s_load_dwordx4 s[4:7], s[0:1], 0x68
	s_load_dwordx2 s[12:13], s[0:1], 0x30
	s_load_dword s3, s[0:1], 0x74
	s_load_dwordx4 s[8:11], s[0:1], 0x0
	s_load_dwordx2 s[16:17], s[0:1], 0x10
	s_waitcnt lgkmcnt(0)
	s_bitcmp1_b32 s7, 0
	s_cselect_b64 s[18:19], -1, 0
	s_bitcmp1_b32 s3, 16
	s_cselect_b64 s[14:15], -1, 0
	s_xor_b64 s[20:21], s[18:19], -1
	s_or_b64 s[20:21], s[14:15], s[20:21]
	s_and_b64 s[18:19], s[18:19], exec
	s_cselect_b32 s19, s17, 0
	s_cselect_b32 s18, s16, 0
	s_and_b64 vcc, exec, s[20:21]
	v_mov_b64_e32 v[10:11], s[18:19]
	s_cbranch_vccnz .LBB11_2
; %bb.1:
	v_mov_b64_e32 v[2:3], s[16:17]
	flat_load_dwordx2 v[10:11], v[2:3]
.LBB11_2:
	s_bitcmp1_b32 s3, 8
	s_cselect_b64 s[16:17], -1, 0
	s_xor_b64 s[18:19], s[16:17], -1
	s_or_b64 s[14:15], s[14:15], s[18:19]
	s_and_b64 s[16:17], s[16:17], exec
	s_cselect_b32 s17, s13, 0
	s_cselect_b32 s16, s12, 0
	s_and_b64 vcc, exec, s[14:15]
	v_mov_b64_e32 v[12:13], s[16:17]
	s_cbranch_vccnz .LBB11_4
; %bb.3:
	v_mov_b64_e32 v[2:3], s[12:13]
	flat_load_dwordx2 v[12:13], v[2:3]
.LBB11_4:
	s_lshl_b32 s2, s2, 2
	v_lshrrev_b32_e32 v1, 6, v0
	s_and_b32 s2, s2, 0x3fffffc
	v_or_b32_e32 v2, s2, v1
	v_mov_b32_e32 v3, 0
	v_cmp_gt_i64_e32 vcc, s[8:9], v[2:3]
	s_and_saveexec_b64 s[2:3], vcc
	s_cbranch_execz .LBB11_33
; %bb.5:
	s_load_dwordx4 s[12:15], s[0:1], 0x18
	s_load_dwordx2 s[2:3], s[0:1], 0x50
	s_load_dwordx2 s[8:9], s[0:1], 0x38
	v_lshlrev_b32_e32 v1, 3, v2
	v_mov_b64_e32 v[18:19], s[10:11]
	s_waitcnt lgkmcnt(0)
	global_load_dwordx4 v[2:5], v1, s[12:13]
	global_load_dwordx4 v[6:9], v1, s[8:9]
	global_load_dwordx2 v[16:17], v1, s[2:3]
	s_waitcnt vmcnt(0)
	v_subrev_co_u32_e32 v14, vcc, s4, v2
	s_nop 1
	v_subbrev_co_u32_e32 v15, vcc, 0, v3, vcc
	v_cmp_lt_i64_e32 vcc, v[2:3], v[4:5]
	s_and_saveexec_b64 s[2:3], vcc
	s_cbranch_execz .LBB11_7
; %bb.6:
	v_lshl_add_u64 v[2:3], v[14:15], 3, s[14:15]
	global_load_dwordx2 v[2:3], v[2:3], off
	s_waitcnt vmcnt(0)
	v_subrev_co_u32_e32 v18, vcc, s4, v2
	s_nop 1
	v_subbrev_co_u32_e32 v19, vcc, 0, v3, vcc
.LBB11_7:
	s_or_b64 exec, exec, s[2:3]
	s_load_dwordx2 s[2:3], s[0:1], 0x40
	v_subrev_co_u32_e32 v22, vcc, s5, v6
	s_mov_b32 s30, s5
	s_nop 0
	v_subbrev_co_u32_e32 v23, vcc, 0, v7, vcc
	v_cmp_lt_i64_e32 vcc, v[6:7], v[8:9]
	v_mov_b64_e32 v[20:21], s[10:11]
	s_and_saveexec_b64 s[8:9], vcc
	s_cbranch_execz .LBB11_9
; %bb.8:
	s_waitcnt lgkmcnt(0)
	v_lshl_add_u64 v[2:3], v[22:23], 3, s[2:3]
	global_load_dwordx2 v[2:3], v[2:3], off
	s_waitcnt vmcnt(0)
	v_subrev_co_u32_e32 v20, vcc, s30, v2
	s_nop 1
	v_subbrev_co_u32_e32 v21, vcc, 0, v3, vcc
.LBB11_9:
	s_or_b64 exec, exec, s[8:9]
	v_subrev_co_u32_e32 v2, vcc, s4, v4
	v_and_b32_e32 v1, 0xc0, v0
	s_nop 0
	v_subbrev_co_u32_e32 v3, vcc, 0, v5, vcc
	v_subrev_co_u32_e32 v4, vcc, s30, v8
	v_or_b32_e32 v32, 0x800, v1
	s_nop 0
	v_subbrev_co_u32_e32 v5, vcc, 0, v9, vcc
	v_lshlrev_b32_e32 v33, 3, v1
	v_subrev_co_u32_e32 v6, vcc, s6, v16
	v_and_b32_e32 v8, 63, v0
	v_mov_b32_e32 v9, 0
	v_mbcnt_lo_u32_b32 v1, -1, 0
	v_subbrev_co_u32_e32 v7, vcc, 0, v17, vcc
	v_lshl_add_u64 v[16:17], v[22:23], 0, v[8:9]
	v_mbcnt_hi_u32_b32 v22, -1, v1
	v_and_b32_e32 v1, 64, v22
	v_cmp_lt_i64_e32 vcc, v[20:21], v[18:19]
	v_add_u32_e32 v23, 64, v1
	v_xor_b32_e32 v24, 32, v22
	v_cndmask_b32_e32 v21, v19, v21, vcc
	v_cndmask_b32_e32 v20, v18, v20, vcc
	v_cmp_lt_i32_e32 vcc, v24, v23
	s_load_dwordx4 s[16:19], s[0:1], 0x58
	s_load_dwordx2 s[8:9], s[0:1], 0x48
	s_load_dwordx2 s[12:13], s[0:1], 0x28
	v_cndmask_b32_e32 v24, v22, v24, vcc
	v_lshlrev_b32_e32 v35, 2, v24
	v_xor_b32_e32 v24, 16, v22
	v_cmp_lt_i32_e32 vcc, v24, v23
	s_mov_b32 s7, 0
	v_bitop3_b32 v0, v0, 63, v0 bitop3:0xc
	v_cndmask_b32_e32 v24, v22, v24, vcc
	v_lshlrev_b32_e32 v36, 2, v24
	v_xor_b32_e32 v24, 8, v22
	v_cmp_lt_i32_e32 vcc, v24, v23
	v_lshl_add_u64 v[14:15], v[14:15], 0, v[8:9]
	v_lshl_or_b32 v34, v8, 3, v33
	v_cndmask_b32_e32 v24, v22, v24, vcc
	v_lshlrev_b32_e32 v37, 2, v24
	v_xor_b32_e32 v24, 4, v22
	v_cmp_lt_i32_e32 vcc, v24, v23
	v_lshrrev_b64 v[0:1], v0, -1
	v_lshl_add_u64 v[18:19], s[6:7], 0, v[8:9]
	v_cndmask_b32_e32 v24, v22, v24, vcc
	v_lshlrev_b32_e32 v38, 2, v24
	v_xor_b32_e32 v24, 2, v22
	v_cmp_lt_i32_e32 vcc, v24, v23
	s_mov_b64 s[20:21], 0
	v_add_u32_e32 v41, v32, v8
	v_cndmask_b32_e32 v24, v22, v24, vcc
	v_lshlrev_b32_e32 v39, 2, v24
	v_xor_b32_e32 v24, 1, v22
	v_cmp_lt_i32_e32 vcc, v24, v23
	v_mov_b32_e32 v44, v9
	v_mov_b32_e32 v45, v9
	v_cndmask_b32_e32 v22, v22, v24, vcc
	v_lshlrev_b32_e32 v40, 2, v22
	v_mov_b32_e32 v42, 1
	s_mov_b64 s[22:23], 0x200
	s_branch .LBB11_11
.LBB11_10:                              ;   in Loop: Header=BB11_11 Depth=1
	s_or_b64 exec, exec, s[24:25]
	ds_bpermute_b32 v20, v35, v22
	ds_bpermute_b32 v21, v35, v23
	s_bcnt1_i32_b64 s6, vcc
	v_lshl_add_u64 v[6:7], s[6:7], 0, v[6:7]
	s_waitcnt lgkmcnt(0)
	v_cmp_lt_i64_e64 s[0:1], v[20:21], v[22:23]
	s_nop 1
	v_cndmask_b32_e64 v21, v23, v21, s[0:1]
	v_cndmask_b32_e64 v20, v22, v20, s[0:1]
	ds_bpermute_b32 v23, v36, v21
	ds_bpermute_b32 v22, v36, v20
	s_waitcnt lgkmcnt(0)
	v_cmp_lt_i64_e64 s[0:1], v[22:23], v[20:21]
	s_nop 1
	v_cndmask_b32_e64 v21, v21, v23, s[0:1]
	v_cndmask_b32_e64 v20, v20, v22, s[0:1]
	ds_bpermute_b32 v23, v37, v21
	ds_bpermute_b32 v22, v37, v20
	;; [unrolled: 7-line block ×5, first 2 shown]
	s_waitcnt lgkmcnt(0)
	v_cmp_lt_i64_e32 vcc, v[22:23], v[20:21]
	s_nop 1
	v_cndmask_b32_e32 v21, v21, v23, vcc
	v_cndmask_b32_e32 v20, v20, v22, vcc
	v_cmp_le_i64_e32 vcc, s[10:11], v[20:21]
	s_or_b64 s[20:21], vcc, s[20:21]
	s_andn2_b64 exec, exec, s[20:21]
	s_cbranch_execz .LBB11_33
.LBB11_11:                              ; =>This Loop Header: Depth=1
                                        ;     Child Loop BB11_14 Depth 2
                                        ;     Child Loop BB11_24 Depth 2
	v_cmp_lt_i64_e32 vcc, v[14:15], v[2:3]
	v_mov_b64_e32 v[22:23], s[10:11]
	ds_write_b8 v41, v9
	ds_write_b64 v34, v[44:45]
	s_waitcnt lgkmcnt(0)
	s_and_saveexec_b64 s[24:25], vcc
	s_cbranch_execz .LBB11_21
; %bb.12:                               ;   in Loop: Header=BB11_11 Depth=1
	v_lshlrev_b64 v[22:23], 3, v[14:15]
	v_lshl_add_u64 v[24:25], s[14:15], 0, v[22:23]
	v_lshl_add_u64 v[26:27], s[12:13], 0, v[22:23]
	s_mov_b64 s[26:27], 0
	v_mov_b64_e32 v[22:23], s[10:11]
	s_branch .LBB11_14
.LBB11_13:                              ;   in Loop: Header=BB11_14 Depth=2
	s_or_b64 exec, exec, s[28:29]
	s_and_b64 s[0:1], exec, s[0:1]
	s_or_b64 s[26:27], s[0:1], s[26:27]
	s_andn2_b64 exec, exec, s[26:27]
	s_cbranch_execz .LBB11_20
.LBB11_14:                              ;   Parent Loop BB11_11 Depth=1
                                        ; =>  This Inner Loop Header: Depth=2
	global_load_dwordx2 v[28:29], v[24:25], off
	s_waitcnt vmcnt(0)
	v_subrev_co_u32_e32 v30, vcc, s4, v28
	s_nop 1
	v_subbrev_co_u32_e32 v31, vcc, 0, v29, vcc
	v_sub_co_u32_e32 v28, vcc, v30, v20
	s_nop 1
	v_subb_co_u32_e32 v29, vcc, v31, v21, vcc
	v_cmp_gt_i64_e32 vcc, 64, v[28:29]
	v_cmp_lt_i64_e64 s[0:1], 63, v[28:29]
	s_and_saveexec_b64 s[28:29], s[0:1]
	s_xor_b64 s[28:29], exec, s[28:29]
	s_cbranch_execnz .LBB11_17
; %bb.15:                               ;   in Loop: Header=BB11_14 Depth=2
	s_andn2_saveexec_b64 s[0:1], s[28:29]
	s_cbranch_execnz .LBB11_18
.LBB11_16:                              ;   in Loop: Header=BB11_14 Depth=2
	s_or_b64 exec, exec, s[0:1]
	s_mov_b64 s[0:1], -1
	s_and_saveexec_b64 s[28:29], vcc
	s_cbranch_execz .LBB11_13
	s_branch .LBB11_19
.LBB11_17:                              ;   in Loop: Header=BB11_14 Depth=2
	v_cmp_lt_i64_e64 s[0:1], v[30:31], v[22:23]
                                        ; implicit-def: $vgpr28
	s_nop 1
	v_cndmask_b32_e64 v23, v23, v31, s[0:1]
	v_cndmask_b32_e64 v22, v22, v30, s[0:1]
	s_andn2_saveexec_b64 s[0:1], s[28:29]
	s_cbranch_execz .LBB11_16
.LBB11_18:                              ;   in Loop: Header=BB11_14 Depth=2
	global_load_dwordx2 v[30:31], v[26:27], off
	v_add_u32_e32 v8, v32, v28
	ds_write_b8 v8, v42
	v_lshl_add_u32 v8, v28, 3, v33
	s_waitcnt vmcnt(0)
	v_mul_f64 v[30:31], v[10:11], v[30:31]
	ds_write_b64 v8, v[30:31]
	s_or_b64 exec, exec, s[0:1]
	s_mov_b64 s[0:1], -1
	s_and_saveexec_b64 s[28:29], vcc
	s_cbranch_execz .LBB11_13
.LBB11_19:                              ;   in Loop: Header=BB11_14 Depth=2
	v_lshl_add_u64 v[14:15], v[14:15], 0, 64
	v_cmp_ge_i64_e32 vcc, v[14:15], v[2:3]
	v_lshl_add_u64 v[24:25], v[24:25], 0, s[22:23]
	v_lshl_add_u64 v[26:27], v[26:27], 0, s[22:23]
	s_orn2_b64 s[0:1], vcc, exec
	s_branch .LBB11_13
.LBB11_20:                              ;   in Loop: Header=BB11_11 Depth=1
	s_or_b64 exec, exec, s[26:27]
.LBB11_21:                              ;   in Loop: Header=BB11_11 Depth=1
	s_or_b64 exec, exec, s[24:25]
	v_cmp_lt_i64_e32 vcc, v[16:17], v[4:5]
	s_waitcnt lgkmcnt(0)
	s_and_saveexec_b64 s[24:25], vcc
	s_cbranch_execz .LBB11_31
; %bb.22:                               ;   in Loop: Header=BB11_11 Depth=1
	v_lshlrev_b64 v[26:27], 3, v[16:17]
	v_lshl_add_u64 v[24:25], s[2:3], 0, v[26:27]
	v_lshl_add_u64 v[26:27], s[8:9], 0, v[26:27]
	s_mov_b64 s[26:27], 0
	s_branch .LBB11_24
.LBB11_23:                              ;   in Loop: Header=BB11_24 Depth=2
	s_or_b64 exec, exec, s[28:29]
	s_and_b64 s[0:1], exec, s[0:1]
	s_or_b64 s[26:27], s[0:1], s[26:27]
	s_andn2_b64 exec, exec, s[26:27]
	s_cbranch_execz .LBB11_30
.LBB11_24:                              ;   Parent Loop BB11_11 Depth=1
                                        ; =>  This Inner Loop Header: Depth=2
	global_load_dwordx2 v[28:29], v[24:25], off
	s_waitcnt vmcnt(0)
	v_subrev_co_u32_e32 v30, vcc, s30, v28
	s_nop 1
	v_subbrev_co_u32_e32 v31, vcc, 0, v29, vcc
	v_sub_co_u32_e32 v28, vcc, v30, v20
	s_nop 1
	v_subb_co_u32_e32 v29, vcc, v31, v21, vcc
	v_cmp_gt_i64_e32 vcc, 64, v[28:29]
	v_cmp_lt_i64_e64 s[0:1], 63, v[28:29]
	s_and_saveexec_b64 s[28:29], s[0:1]
	s_xor_b64 s[28:29], exec, s[28:29]
	s_cbranch_execnz .LBB11_27
; %bb.25:                               ;   in Loop: Header=BB11_24 Depth=2
	s_andn2_saveexec_b64 s[0:1], s[28:29]
	s_cbranch_execnz .LBB11_28
.LBB11_26:                              ;   in Loop: Header=BB11_24 Depth=2
	s_or_b64 exec, exec, s[0:1]
	s_mov_b64 s[0:1], -1
	s_and_saveexec_b64 s[28:29], vcc
	s_cbranch_execz .LBB11_23
	s_branch .LBB11_29
.LBB11_27:                              ;   in Loop: Header=BB11_24 Depth=2
	v_cmp_lt_i64_e64 s[0:1], v[30:31], v[22:23]
                                        ; implicit-def: $vgpr28
	s_nop 1
	v_cndmask_b32_e64 v23, v23, v31, s[0:1]
	v_cndmask_b32_e64 v22, v22, v30, s[0:1]
	s_andn2_saveexec_b64 s[0:1], s[28:29]
	s_cbranch_execz .LBB11_26
.LBB11_28:                              ;   in Loop: Header=BB11_24 Depth=2
	global_load_dwordx2 v[30:31], v[26:27], off
	v_lshl_add_u32 v8, v28, 3, v33
	ds_read_b64 v[46:47], v8
	v_add_u32_e32 v28, v32, v28
	ds_write_b8 v28, v42
	s_waitcnt vmcnt(0) lgkmcnt(1)
	v_fmac_f64_e32 v[46:47], v[12:13], v[30:31]
	ds_write_b64 v8, v[46:47]
	s_or_b64 exec, exec, s[0:1]
	s_mov_b64 s[0:1], -1
	s_and_saveexec_b64 s[28:29], vcc
	s_cbranch_execz .LBB11_23
.LBB11_29:                              ;   in Loop: Header=BB11_24 Depth=2
	v_lshl_add_u64 v[16:17], v[16:17], 0, 64
	v_cmp_ge_i64_e32 vcc, v[16:17], v[4:5]
	v_lshl_add_u64 v[24:25], v[24:25], 0, s[22:23]
	v_lshl_add_u64 v[26:27], v[26:27], 0, s[22:23]
	s_orn2_b64 s[0:1], vcc, exec
	s_branch .LBB11_23
.LBB11_30:                              ;   in Loop: Header=BB11_11 Depth=1
	s_or_b64 exec, exec, s[26:27]
.LBB11_31:                              ;   in Loop: Header=BB11_11 Depth=1
	s_or_b64 exec, exec, s[24:25]
	s_waitcnt lgkmcnt(0)
	ds_read_u8 v8, v41
	s_waitcnt lgkmcnt(0)
	v_and_b32_e32 v24, 1, v8
	v_cmp_eq_u32_e64 s[0:1], 1, v24
	v_cmp_ne_u16_e32 vcc, 0, v8
	s_and_saveexec_b64 s[24:25], s[0:1]
	s_cbranch_execz .LBB11_10
; %bb.32:                               ;   in Loop: Header=BB11_11 Depth=1
	v_and_b32_e32 v24, vcc_lo, v0
	v_and_b32_e32 v8, vcc_hi, v1
	v_bcnt_u32_b32 v24, v24, 0
	v_bcnt_u32_b32 v8, v8, v24
	ds_read_b64 v[26:27], v34
	v_lshl_add_u64 v[24:25], v[6:7], 0, v[8:9]
	v_lshlrev_b64 v[24:25], 3, v[24:25]
	v_lshl_add_u64 v[20:21], v[18:19], 0, v[20:21]
	v_lshl_add_u64 v[28:29], s[16:17], 0, v[24:25]
	global_store_dwordx2 v[28:29], v[20:21], off offset:-8
	v_lshl_add_u64 v[20:21], s[18:19], 0, v[24:25]
	s_waitcnt lgkmcnt(0)
	global_store_dwordx2 v[20:21], v[26:27], off offset:-8
	s_branch .LBB11_10
.LBB11_33:
	s_endpgm
	.section	.rodata,"a",@progbits
	.p2align	6, 0x0
	.amdhsa_kernel _ZN9rocsparseL29csrgeam_fill_multipass_kernelILj256ELj64ElldEEvllNS_24const_host_device_scalarIT3_EEPKT1_PKT2_PKS2_S3_S6_S9_SB_S6_PS7_PS2_21rocsparse_index_base_SE_SE_bbb
		.amdhsa_group_segment_fixed_size 2304
		.amdhsa_private_segment_fixed_size 0
		.amdhsa_kernarg_size 120
		.amdhsa_user_sgpr_count 2
		.amdhsa_user_sgpr_dispatch_ptr 0
		.amdhsa_user_sgpr_queue_ptr 0
		.amdhsa_user_sgpr_kernarg_segment_ptr 1
		.amdhsa_user_sgpr_dispatch_id 0
		.amdhsa_user_sgpr_kernarg_preload_length 0
		.amdhsa_user_sgpr_kernarg_preload_offset 0
		.amdhsa_user_sgpr_private_segment_size 0
		.amdhsa_uses_dynamic_stack 0
		.amdhsa_enable_private_segment 0
		.amdhsa_system_sgpr_workgroup_id_x 1
		.amdhsa_system_sgpr_workgroup_id_y 0
		.amdhsa_system_sgpr_workgroup_id_z 0
		.amdhsa_system_sgpr_workgroup_info 0
		.amdhsa_system_vgpr_workitem_id 0
		.amdhsa_next_free_vgpr 48
		.amdhsa_next_free_sgpr 31
		.amdhsa_accum_offset 48
		.amdhsa_reserve_vcc 1
		.amdhsa_float_round_mode_32 0
		.amdhsa_float_round_mode_16_64 0
		.amdhsa_float_denorm_mode_32 3
		.amdhsa_float_denorm_mode_16_64 3
		.amdhsa_dx10_clamp 1
		.amdhsa_ieee_mode 1
		.amdhsa_fp16_overflow 0
		.amdhsa_tg_split 0
		.amdhsa_exception_fp_ieee_invalid_op 0
		.amdhsa_exception_fp_denorm_src 0
		.amdhsa_exception_fp_ieee_div_zero 0
		.amdhsa_exception_fp_ieee_overflow 0
		.amdhsa_exception_fp_ieee_underflow 0
		.amdhsa_exception_fp_ieee_inexact 0
		.amdhsa_exception_int_div_zero 0
	.end_amdhsa_kernel
	.section	.text._ZN9rocsparseL29csrgeam_fill_multipass_kernelILj256ELj64ElldEEvllNS_24const_host_device_scalarIT3_EEPKT1_PKT2_PKS2_S3_S6_S9_SB_S6_PS7_PS2_21rocsparse_index_base_SE_SE_bbb,"axG",@progbits,_ZN9rocsparseL29csrgeam_fill_multipass_kernelILj256ELj64ElldEEvllNS_24const_host_device_scalarIT3_EEPKT1_PKT2_PKS2_S3_S6_S9_SB_S6_PS7_PS2_21rocsparse_index_base_SE_SE_bbb,comdat
.Lfunc_end11:
	.size	_ZN9rocsparseL29csrgeam_fill_multipass_kernelILj256ELj64ElldEEvllNS_24const_host_device_scalarIT3_EEPKT1_PKT2_PKS2_S3_S6_S9_SB_S6_PS7_PS2_21rocsparse_index_base_SE_SE_bbb, .Lfunc_end11-_ZN9rocsparseL29csrgeam_fill_multipass_kernelILj256ELj64ElldEEvllNS_24const_host_device_scalarIT3_EEPKT1_PKT2_PKS2_S3_S6_S9_SB_S6_PS7_PS2_21rocsparse_index_base_SE_SE_bbb
                                        ; -- End function
	.set _ZN9rocsparseL29csrgeam_fill_multipass_kernelILj256ELj64ElldEEvllNS_24const_host_device_scalarIT3_EEPKT1_PKT2_PKS2_S3_S6_S9_SB_S6_PS7_PS2_21rocsparse_index_base_SE_SE_bbb.num_vgpr, 48
	.set _ZN9rocsparseL29csrgeam_fill_multipass_kernelILj256ELj64ElldEEvllNS_24const_host_device_scalarIT3_EEPKT1_PKT2_PKS2_S3_S6_S9_SB_S6_PS7_PS2_21rocsparse_index_base_SE_SE_bbb.num_agpr, 0
	.set _ZN9rocsparseL29csrgeam_fill_multipass_kernelILj256ELj64ElldEEvllNS_24const_host_device_scalarIT3_EEPKT1_PKT2_PKS2_S3_S6_S9_SB_S6_PS7_PS2_21rocsparse_index_base_SE_SE_bbb.numbered_sgpr, 31
	.set _ZN9rocsparseL29csrgeam_fill_multipass_kernelILj256ELj64ElldEEvllNS_24const_host_device_scalarIT3_EEPKT1_PKT2_PKS2_S3_S6_S9_SB_S6_PS7_PS2_21rocsparse_index_base_SE_SE_bbb.num_named_barrier, 0
	.set _ZN9rocsparseL29csrgeam_fill_multipass_kernelILj256ELj64ElldEEvllNS_24const_host_device_scalarIT3_EEPKT1_PKT2_PKS2_S3_S6_S9_SB_S6_PS7_PS2_21rocsparse_index_base_SE_SE_bbb.private_seg_size, 0
	.set _ZN9rocsparseL29csrgeam_fill_multipass_kernelILj256ELj64ElldEEvllNS_24const_host_device_scalarIT3_EEPKT1_PKT2_PKS2_S3_S6_S9_SB_S6_PS7_PS2_21rocsparse_index_base_SE_SE_bbb.uses_vcc, 1
	.set _ZN9rocsparseL29csrgeam_fill_multipass_kernelILj256ELj64ElldEEvllNS_24const_host_device_scalarIT3_EEPKT1_PKT2_PKS2_S3_S6_S9_SB_S6_PS7_PS2_21rocsparse_index_base_SE_SE_bbb.uses_flat_scratch, 0
	.set _ZN9rocsparseL29csrgeam_fill_multipass_kernelILj256ELj64ElldEEvllNS_24const_host_device_scalarIT3_EEPKT1_PKT2_PKS2_S3_S6_S9_SB_S6_PS7_PS2_21rocsparse_index_base_SE_SE_bbb.has_dyn_sized_stack, 0
	.set _ZN9rocsparseL29csrgeam_fill_multipass_kernelILj256ELj64ElldEEvllNS_24const_host_device_scalarIT3_EEPKT1_PKT2_PKS2_S3_S6_S9_SB_S6_PS7_PS2_21rocsparse_index_base_SE_SE_bbb.has_recursion, 0
	.set _ZN9rocsparseL29csrgeam_fill_multipass_kernelILj256ELj64ElldEEvllNS_24const_host_device_scalarIT3_EEPKT1_PKT2_PKS2_S3_S6_S9_SB_S6_PS7_PS2_21rocsparse_index_base_SE_SE_bbb.has_indirect_call, 0
	.section	.AMDGPU.csdata,"",@progbits
; Kernel info:
; codeLenInByte = 1772
; TotalNumSgprs: 37
; NumVgprs: 48
; NumAgprs: 0
; TotalNumVgprs: 48
; ScratchSize: 0
; MemoryBound: 0
; FloatMode: 240
; IeeeMode: 1
; LDSByteSize: 2304 bytes/workgroup (compile time only)
; SGPRBlocks: 4
; VGPRBlocks: 5
; NumSGPRsForWavesPerEU: 37
; NumVGPRsForWavesPerEU: 48
; AccumOffset: 48
; Occupancy: 8
; WaveLimiterHint : 1
; COMPUTE_PGM_RSRC2:SCRATCH_EN: 0
; COMPUTE_PGM_RSRC2:USER_SGPR: 2
; COMPUTE_PGM_RSRC2:TRAP_HANDLER: 0
; COMPUTE_PGM_RSRC2:TGID_X_EN: 1
; COMPUTE_PGM_RSRC2:TGID_Y_EN: 0
; COMPUTE_PGM_RSRC2:TGID_Z_EN: 0
; COMPUTE_PGM_RSRC2:TIDIG_COMP_CNT: 0
; COMPUTE_PGM_RSRC3_GFX90A:ACCUM_OFFSET: 11
; COMPUTE_PGM_RSRC3_GFX90A:TG_SPLIT: 0
	.section	.text._ZN9rocsparseL29csrgeam_fill_multipass_kernelILj256ELj32Eii21rocsparse_complex_numIfEEEvllNS_24const_host_device_scalarIT3_EEPKT1_PKT2_PKS4_S5_S8_SB_SD_S8_PS9_PS4_21rocsparse_index_base_SG_SG_bbb,"axG",@progbits,_ZN9rocsparseL29csrgeam_fill_multipass_kernelILj256ELj32Eii21rocsparse_complex_numIfEEEvllNS_24const_host_device_scalarIT3_EEPKT1_PKT2_PKS4_S5_S8_SB_SD_S8_PS9_PS4_21rocsparse_index_base_SG_SG_bbb,comdat
	.globl	_ZN9rocsparseL29csrgeam_fill_multipass_kernelILj256ELj32Eii21rocsparse_complex_numIfEEEvllNS_24const_host_device_scalarIT3_EEPKT1_PKT2_PKS4_S5_S8_SB_SD_S8_PS9_PS4_21rocsparse_index_base_SG_SG_bbb ; -- Begin function _ZN9rocsparseL29csrgeam_fill_multipass_kernelILj256ELj32Eii21rocsparse_complex_numIfEEEvllNS_24const_host_device_scalarIT3_EEPKT1_PKT2_PKS4_S5_S8_SB_SD_S8_PS9_PS4_21rocsparse_index_base_SG_SG_bbb
	.p2align	8
	.type	_ZN9rocsparseL29csrgeam_fill_multipass_kernelILj256ELj32Eii21rocsparse_complex_numIfEEEvllNS_24const_host_device_scalarIT3_EEPKT1_PKT2_PKS4_S5_S8_SB_SD_S8_PS9_PS4_21rocsparse_index_base_SG_SG_bbb,@function
_ZN9rocsparseL29csrgeam_fill_multipass_kernelILj256ELj32Eii21rocsparse_complex_numIfEEEvllNS_24const_host_device_scalarIT3_EEPKT1_PKT2_PKS4_S5_S8_SB_SD_S8_PS9_PS4_21rocsparse_index_base_SG_SG_bbb: ; @_ZN9rocsparseL29csrgeam_fill_multipass_kernelILj256ELj32Eii21rocsparse_complex_numIfEEEvllNS_24const_host_device_scalarIT3_EEPKT1_PKT2_PKS4_S5_S8_SB_SD_S8_PS9_PS4_21rocsparse_index_base_SG_SG_bbb
; %bb.0:
	s_load_dwordx8 s[4:11], s[0:1], 0x40
	s_load_dword s3, s[0:1], 0x74
	s_load_dwordx8 s[12:19], s[0:1], 0x0
	s_load_dwordx8 s[20:27], s[0:1], 0x20
	s_load_dwordx2 s[34:35], s[0:1], 0x60
	s_load_dwordx4 s[28:31], s[0:1], 0x68
	s_waitcnt lgkmcnt(0)
	s_bitcmp1_b32 s3, 16
	s_cselect_b64 s[0:1], -1, 0
	s_xor_b64 s[0:1], s[0:1], -1
	s_mov_b32 s37, 0
	v_cndmask_b32_e64 v1, 0, 1, s[0:1]
	s_bitcmp0_b32 s31, 0
	v_cmp_ne_u32_e64 s[0:1], 1, v1
	s_mov_b32 s36, s37
	s_cbranch_scc1 .LBB12_6
; %bb.1:
	s_and_b64 vcc, exec, s[0:1]
	s_mov_b32 s36, s16
	s_cbranch_vccnz .LBB12_3
; %bb.2:
	s_load_dword s36, s[16:17], 0x0
.LBB12_3:
	s_and_b64 vcc, exec, s[0:1]
	s_cbranch_vccnz .LBB12_5
; %bb.4:
	s_load_dword s17, s[16:17], 0x4
.LBB12_5:
	s_waitcnt lgkmcnt(0)
	s_mov_b32 s37, s17
.LBB12_6:
	s_mov_b32 s16, 0
	s_bfe_u32 s3, s3, 0x10008
	s_cmp_eq_u32 s3, 0
	s_mov_b32 s17, s16
	s_cbranch_scc1 .LBB12_12
; %bb.7:
	s_and_b64 vcc, exec, s[0:1]
	s_mov_b32 s16, s24
	s_cbranch_vccnz .LBB12_9
; %bb.8:
	s_load_dword s16, s[24:25], 0x0
.LBB12_9:
	s_and_b64 vcc, exec, s[0:1]
	s_cbranch_vccnz .LBB12_11
; %bb.10:
	s_load_dword s25, s[24:25], 0x4
.LBB12_11:
	s_waitcnt lgkmcnt(0)
	s_mov_b32 s17, s25
.LBB12_12:
	s_lshl_b32 s0, s2, 3
	v_lshrrev_b32_e32 v1, 5, v0
	s_and_b32 s0, s0, 0x7fffff8
	v_or_b32_e32 v2, s0, v1
	v_mov_b32_e32 v3, 0
	v_cmp_gt_i64_e32 vcc, s[12:13], v[2:3]
	s_and_saveexec_b64 s[0:1], vcc
	s_cbranch_execz .LBB12_43
; %bb.13:
	v_lshlrev_b32_e32 v6, 2, v2
	global_load_dwordx2 v[4:5], v6, s[18:19]
	global_load_dwordx2 v[2:3], v6, s[26:27]
	global_load_dword v1, v6, s[8:9]
	s_waitcnt vmcnt(2)
	v_cmp_ge_i32_e32 vcc, v4, v5
	s_and_saveexec_b64 s[0:1], vcc
	s_xor_b64 s[0:1], exec, s[0:1]
	s_or_saveexec_b64 s[0:1], s[0:1]
	v_subrev_u32_e32 v8, s28, v4
	v_mov_b32_e32 v4, s14
	s_xor_b64 exec, exec, s[0:1]
	s_cbranch_execz .LBB12_15
; %bb.14:
	v_ashrrev_i32_e32 v9, 31, v8
	v_lshl_add_u64 v[6:7], v[8:9], 2, s[20:21]
	global_load_dword v4, v[6:7], off
	s_waitcnt vmcnt(0)
	v_subrev_u32_e32 v4, s28, v4
.LBB12_15:
	s_or_b64 exec, exec, s[0:1]
	s_waitcnt vmcnt(1)
	v_cmp_ge_i32_e32 vcc, v2, v3
	v_mov_b32_e32 v23, s14
	s_and_saveexec_b64 s[0:1], vcc
	s_xor_b64 s[0:1], exec, s[0:1]
; %bb.16:
	v_mov_b32_e32 v23, s14
; %bb.17:
	s_or_saveexec_b64 s[0:1], s[0:1]
	v_subrev_u32_e32 v10, s29, v2
	v_mov_b32_e32 v2, v23
	s_xor_b64 exec, exec, s[0:1]
	s_cbranch_execz .LBB12_19
; %bb.18:
	v_ashrrev_i32_e32 v11, 31, v10
	v_lshl_add_u64 v[6:7], v[10:11], 2, s[4:5]
	global_load_dword v2, v[6:7], off
	s_waitcnt vmcnt(0)
	v_subrev_u32_e32 v2, s29, v2
.LBB12_19:
	s_or_b64 exec, exec, s[0:1]
	v_subrev_u32_e32 v12, s28, v5
	v_mbcnt_lo_u32_b32 v5, -1, 0
	v_mbcnt_hi_u32_b32 v5, -1, v5
	v_and_b32_e32 v6, 0xe0, v0
	v_subrev_u32_e32 v13, s29, v3
	v_and_b32_e32 v3, 31, v0
	v_and_b32_e32 v7, 64, v5
	v_bitop3_b32 v0, v0, 31, v0 bitop3:0xc
	v_or_b32_e32 v9, 0x800, v6
	v_lshlrev_b32_e32 v11, 3, v6
	v_min_i32_e32 v6, v2, v4
	v_add_u32_e32 v4, v10, v3
	v_add_u32_e32 v7, 64, v7
	v_lshrrev_b32_e64 v10, v0, -1
	v_xor_b32_e32 v0, 16, v5
	v_cmp_lt_i32_e32 vcc, v0, v7
	s_waitcnt vmcnt(0)
	v_subrev_u32_e32 v14, s30, v1
	v_mov_b32_e32 v1, 0
	v_cndmask_b32_e32 v0, v5, v0, vcc
	v_lshlrev_b32_e32 v16, 2, v0
	v_xor_b32_e32 v0, 8, v5
	v_cmp_lt_i32_e32 vcc, v0, v7
	v_add_u32_e32 v2, v8, v3
	v_lshl_or_b32 v8, v3, 3, v11
	v_cndmask_b32_e32 v0, v5, v0, vcc
	v_lshlrev_b32_e32 v17, 2, v0
	v_xor_b32_e32 v0, 4, v5
	v_cmp_lt_i32_e32 vcc, v0, v7
	s_xor_b32 s2, s37, 0x80000000
	s_xor_b32 s8, s17, 0x80000000
	v_cndmask_b32_e32 v0, v5, v0, vcc
	v_lshlrev_b32_e32 v18, 2, v0
	v_xor_b32_e32 v0, 2, v5
	v_cmp_lt_i32_e32 vcc, v0, v7
	v_add_u32_e32 v15, s30, v3
	s_mov_b32 s3, s36
	v_cndmask_b32_e32 v0, v5, v0, vcc
	v_lshlrev_b32_e32 v19, 2, v0
	v_xor_b32_e32 v0, 1, v5
	v_cmp_lt_i32_e32 vcc, v0, v7
	s_mov_b32 s9, s16
	s_mov_b64 s[12:13], 0
	v_cndmask_b32_e32 v0, v5, v0, vcc
	v_lshlrev_b32_e32 v20, 2, v0
	v_add_u32_e32 v21, v9, v3
	v_mov_b32_e32 v24, v1
	v_mov_b32_e32 v25, v1
	;; [unrolled: 1-line block ×3, first 2 shown]
	s_branch .LBB12_21
.LBB12_20:                              ;   in Loop: Header=BB12_21 Depth=1
	s_or_b64 exec, exec, s[18:19]
	ds_bpermute_b32 v0, v16, v7
	s_bcnt1_i32_b64 s0, vcc
	v_add_u32_e32 v14, s0, v14
	s_waitcnt lgkmcnt(0)
	v_min_i32_e32 v0, v0, v7
	ds_bpermute_b32 v3, v17, v0
	s_waitcnt lgkmcnt(0)
	v_min_i32_e32 v0, v3, v0
	ds_bpermute_b32 v3, v18, v0
	;; [unrolled: 3-line block ×4, first 2 shown]
	s_waitcnt lgkmcnt(0)
	v_min_i32_e32 v6, v3, v0
	v_ashrrev_i32_e32 v7, 31, v6
	v_cmp_le_i64_e32 vcc, s[14:15], v[6:7]
	s_or_b64 s[12:13], vcc, s[12:13]
	s_andn2_b64 exec, exec, s[12:13]
	s_cbranch_execz .LBB12_43
.LBB12_21:                              ; =>This Loop Header: Depth=1
                                        ;     Child Loop BB12_24 Depth 2
                                        ;     Child Loop BB12_34 Depth 2
	v_cmp_lt_i32_e32 vcc, v2, v12
	v_mov_b32_e32 v7, v23
	ds_write_b8 v21, v1
	ds_write_b64 v8, v[24:25]
	s_waitcnt lgkmcnt(0)
	s_and_saveexec_b64 s[18:19], vcc
	s_cbranch_execz .LBB12_31
; %bb.22:                               ;   in Loop: Header=BB12_21 Depth=1
	s_mov_b64 s[24:25], 0
	v_mov_b32_e32 v7, v23
	s_branch .LBB12_24
.LBB12_23:                              ;   in Loop: Header=BB12_24 Depth=2
	s_or_b64 exec, exec, s[26:27]
	s_and_b64 s[0:1], exec, s[0:1]
	s_or_b64 s[24:25], s[0:1], s[24:25]
	s_andn2_b64 exec, exec, s[24:25]
	s_cbranch_execz .LBB12_30
.LBB12_24:                              ;   Parent Loop BB12_21 Depth=1
                                        ; =>  This Inner Loop Header: Depth=2
	v_ashrrev_i32_e32 v3, 31, v2
	v_lshl_add_u64 v[26:27], v[2:3], 2, s[20:21]
	global_load_dword v0, v[26:27], off
	s_waitcnt vmcnt(0)
	v_subrev_u32_e32 v5, s28, v0
	v_sub_u32_e32 v0, v5, v6
	v_cmp_gt_u32_e32 vcc, 32, v0
	v_cmp_lt_u32_e64 s[0:1], 31, v0
	s_and_saveexec_b64 s[26:27], s[0:1]
	s_xor_b64 s[0:1], exec, s[26:27]
	s_cbranch_execnz .LBB12_27
; %bb.25:                               ;   in Loop: Header=BB12_24 Depth=2
	s_andn2_saveexec_b64 s[0:1], s[0:1]
	s_cbranch_execnz .LBB12_28
.LBB12_26:                              ;   in Loop: Header=BB12_24 Depth=2
	s_or_b64 exec, exec, s[0:1]
	s_mov_b64 s[0:1], -1
	s_and_saveexec_b64 s[26:27], vcc
	s_cbranch_execz .LBB12_23
	s_branch .LBB12_29
.LBB12_27:                              ;   in Loop: Header=BB12_24 Depth=2
	v_min_i32_e32 v7, v5, v7
                                        ; implicit-def: $vgpr0
	s_andn2_saveexec_b64 s[0:1], s[0:1]
	s_cbranch_execz .LBB12_26
.LBB12_28:                              ;   in Loop: Header=BB12_24 Depth=2
	v_lshl_add_u64 v[26:27], v[2:3], 3, s[22:23]
	global_load_dwordx2 v[26:27], v[26:27], off
	v_add_u32_e32 v3, v9, v0
	v_lshl_add_u32 v0, v0, 3, v11
	ds_write_b8 v3, v22
	s_waitcnt vmcnt(0)
	v_pk_mul_f32 v[28:29], v[26:27], s[2:3] op_sel:[1,0]
	s_nop 0
	v_pk_fma_f32 v[26:27], s[36:37], v[26:27], v[28:29] op_sel_hi:[1,0,1]
	ds_write_b64 v0, v[26:27]
	s_or_b64 exec, exec, s[0:1]
	s_mov_b64 s[0:1], -1
	s_and_saveexec_b64 s[26:27], vcc
	s_cbranch_execz .LBB12_23
.LBB12_29:                              ;   in Loop: Header=BB12_24 Depth=2
	v_add_u32_e32 v2, 32, v2
	v_cmp_ge_i32_e32 vcc, v2, v12
	s_orn2_b64 s[0:1], vcc, exec
	s_branch .LBB12_23
.LBB12_30:                              ;   in Loop: Header=BB12_21 Depth=1
	s_or_b64 exec, exec, s[24:25]
.LBB12_31:                              ;   in Loop: Header=BB12_21 Depth=1
	s_or_b64 exec, exec, s[18:19]
	v_cmp_lt_i32_e32 vcc, v4, v13
	s_waitcnt lgkmcnt(0)
	s_and_saveexec_b64 s[18:19], vcc
	s_cbranch_execz .LBB12_41
; %bb.32:                               ;   in Loop: Header=BB12_21 Depth=1
	s_mov_b64 s[24:25], 0
	s_branch .LBB12_34
.LBB12_33:                              ;   in Loop: Header=BB12_34 Depth=2
	s_or_b64 exec, exec, s[26:27]
	s_and_b64 s[0:1], exec, s[0:1]
	s_or_b64 s[24:25], s[0:1], s[24:25]
	s_andn2_b64 exec, exec, s[24:25]
	s_cbranch_execz .LBB12_40
.LBB12_34:                              ;   Parent Loop BB12_21 Depth=1
                                        ; =>  This Inner Loop Header: Depth=2
	v_ashrrev_i32_e32 v5, 31, v4
	v_lshl_add_u64 v[26:27], v[4:5], 2, s[4:5]
	global_load_dword v0, v[26:27], off
	s_waitcnt vmcnt(0)
	v_subrev_u32_e32 v3, s29, v0
	v_sub_u32_e32 v0, v3, v6
	v_cmp_gt_u32_e32 vcc, 32, v0
	v_cmp_lt_u32_e64 s[0:1], 31, v0
	s_and_saveexec_b64 s[26:27], s[0:1]
	s_xor_b64 s[0:1], exec, s[26:27]
	s_cbranch_execnz .LBB12_37
; %bb.35:                               ;   in Loop: Header=BB12_34 Depth=2
	s_andn2_saveexec_b64 s[0:1], s[0:1]
	s_cbranch_execnz .LBB12_38
.LBB12_36:                              ;   in Loop: Header=BB12_34 Depth=2
	s_or_b64 exec, exec, s[0:1]
	s_mov_b64 s[0:1], -1
	s_and_saveexec_b64 s[26:27], vcc
	s_cbranch_execz .LBB12_33
	s_branch .LBB12_39
.LBB12_37:                              ;   in Loop: Header=BB12_34 Depth=2
	v_min_i32_e32 v7, v3, v7
                                        ; implicit-def: $vgpr0
	s_andn2_saveexec_b64 s[0:1], s[0:1]
	s_cbranch_execz .LBB12_36
.LBB12_38:                              ;   in Loop: Header=BB12_34 Depth=2
	v_lshl_add_u64 v[26:27], v[4:5], 3, s[6:7]
	global_load_dwordx2 v[26:27], v[26:27], off
	v_lshl_add_u32 v3, v0, 3, v11
	ds_read_b64 v[28:29], v3
	v_add_u32_e32 v0, v9, v0
	ds_write_b8 v0, v22
	s_waitcnt vmcnt(0) lgkmcnt(1)
	v_pk_fma_f32 v[28:29], s[16:17], v[26:27], v[28:29] op_sel_hi:[1,0,1]
	s_nop 0
	v_pk_fma_f32 v[26:27], s[8:9], v[26:27], v[28:29] op_sel:[0,1,0]
	ds_write_b64 v3, v[26:27]
	s_or_b64 exec, exec, s[0:1]
	s_mov_b64 s[0:1], -1
	s_and_saveexec_b64 s[26:27], vcc
	s_cbranch_execz .LBB12_33
.LBB12_39:                              ;   in Loop: Header=BB12_34 Depth=2
	v_add_u32_e32 v4, 32, v4
	v_cmp_ge_i32_e32 vcc, v4, v13
	s_orn2_b64 s[0:1], vcc, exec
	s_branch .LBB12_33
.LBB12_40:                              ;   in Loop: Header=BB12_21 Depth=1
	s_or_b64 exec, exec, s[24:25]
.LBB12_41:                              ;   in Loop: Header=BB12_21 Depth=1
	s_or_b64 exec, exec, s[18:19]
	s_waitcnt lgkmcnt(0)
	ds_read_u8 v0, v21
	s_waitcnt lgkmcnt(0)
	v_and_b32_e32 v3, 1, v0
	v_cmp_eq_u32_e64 s[0:1], 1, v3
	v_cmp_ne_u16_e32 vcc, 0, v0
	s_and_saveexec_b64 s[18:19], s[0:1]
	s_cbranch_execz .LBB12_20
; %bb.42:                               ;   in Loop: Header=BB12_21 Depth=1
	v_and_b32_e32 v0, vcc_lo, v10
	ds_read_b64 v[26:27], v8
	v_bcnt_u32_b32 v0, v0, 0
	v_add3_u32 v0, v14, v0, -1
	v_lshl_add_u64 v[28:29], v[0:1], 3, s[34:35]
	v_lshl_add_u64 v[30:31], v[0:1], 2, s[10:11]
	v_add_u32_e32 v0, v15, v6
	global_store_dword v[30:31], v0, off
	s_waitcnt lgkmcnt(0)
	global_store_dwordx2 v[28:29], v[26:27], off
	s_branch .LBB12_20
.LBB12_43:
	s_endpgm
	.section	.rodata,"a",@progbits
	.p2align	6, 0x0
	.amdhsa_kernel _ZN9rocsparseL29csrgeam_fill_multipass_kernelILj256ELj32Eii21rocsparse_complex_numIfEEEvllNS_24const_host_device_scalarIT3_EEPKT1_PKT2_PKS4_S5_S8_SB_SD_S8_PS9_PS4_21rocsparse_index_base_SG_SG_bbb
		.amdhsa_group_segment_fixed_size 2304
		.amdhsa_private_segment_fixed_size 0
		.amdhsa_kernarg_size 120
		.amdhsa_user_sgpr_count 2
		.amdhsa_user_sgpr_dispatch_ptr 0
		.amdhsa_user_sgpr_queue_ptr 0
		.amdhsa_user_sgpr_kernarg_segment_ptr 1
		.amdhsa_user_sgpr_dispatch_id 0
		.amdhsa_user_sgpr_kernarg_preload_length 0
		.amdhsa_user_sgpr_kernarg_preload_offset 0
		.amdhsa_user_sgpr_private_segment_size 0
		.amdhsa_uses_dynamic_stack 0
		.amdhsa_enable_private_segment 0
		.amdhsa_system_sgpr_workgroup_id_x 1
		.amdhsa_system_sgpr_workgroup_id_y 0
		.amdhsa_system_sgpr_workgroup_id_z 0
		.amdhsa_system_sgpr_workgroup_info 0
		.amdhsa_system_vgpr_workitem_id 0
		.amdhsa_next_free_vgpr 32
		.amdhsa_next_free_sgpr 38
		.amdhsa_accum_offset 32
		.amdhsa_reserve_vcc 1
		.amdhsa_float_round_mode_32 0
		.amdhsa_float_round_mode_16_64 0
		.amdhsa_float_denorm_mode_32 3
		.amdhsa_float_denorm_mode_16_64 3
		.amdhsa_dx10_clamp 1
		.amdhsa_ieee_mode 1
		.amdhsa_fp16_overflow 0
		.amdhsa_tg_split 0
		.amdhsa_exception_fp_ieee_invalid_op 0
		.amdhsa_exception_fp_denorm_src 0
		.amdhsa_exception_fp_ieee_div_zero 0
		.amdhsa_exception_fp_ieee_overflow 0
		.amdhsa_exception_fp_ieee_underflow 0
		.amdhsa_exception_fp_ieee_inexact 0
		.amdhsa_exception_int_div_zero 0
	.end_amdhsa_kernel
	.section	.text._ZN9rocsparseL29csrgeam_fill_multipass_kernelILj256ELj32Eii21rocsparse_complex_numIfEEEvllNS_24const_host_device_scalarIT3_EEPKT1_PKT2_PKS4_S5_S8_SB_SD_S8_PS9_PS4_21rocsparse_index_base_SG_SG_bbb,"axG",@progbits,_ZN9rocsparseL29csrgeam_fill_multipass_kernelILj256ELj32Eii21rocsparse_complex_numIfEEEvllNS_24const_host_device_scalarIT3_EEPKT1_PKT2_PKS4_S5_S8_SB_SD_S8_PS9_PS4_21rocsparse_index_base_SG_SG_bbb,comdat
.Lfunc_end12:
	.size	_ZN9rocsparseL29csrgeam_fill_multipass_kernelILj256ELj32Eii21rocsparse_complex_numIfEEEvllNS_24const_host_device_scalarIT3_EEPKT1_PKT2_PKS4_S5_S8_SB_SD_S8_PS9_PS4_21rocsparse_index_base_SG_SG_bbb, .Lfunc_end12-_ZN9rocsparseL29csrgeam_fill_multipass_kernelILj256ELj32Eii21rocsparse_complex_numIfEEEvllNS_24const_host_device_scalarIT3_EEPKT1_PKT2_PKS4_S5_S8_SB_SD_S8_PS9_PS4_21rocsparse_index_base_SG_SG_bbb
                                        ; -- End function
	.set _ZN9rocsparseL29csrgeam_fill_multipass_kernelILj256ELj32Eii21rocsparse_complex_numIfEEEvllNS_24const_host_device_scalarIT3_EEPKT1_PKT2_PKS4_S5_S8_SB_SD_S8_PS9_PS4_21rocsparse_index_base_SG_SG_bbb.num_vgpr, 32
	.set _ZN9rocsparseL29csrgeam_fill_multipass_kernelILj256ELj32Eii21rocsparse_complex_numIfEEEvllNS_24const_host_device_scalarIT3_EEPKT1_PKT2_PKS4_S5_S8_SB_SD_S8_PS9_PS4_21rocsparse_index_base_SG_SG_bbb.num_agpr, 0
	.set _ZN9rocsparseL29csrgeam_fill_multipass_kernelILj256ELj32Eii21rocsparse_complex_numIfEEEvllNS_24const_host_device_scalarIT3_EEPKT1_PKT2_PKS4_S5_S8_SB_SD_S8_PS9_PS4_21rocsparse_index_base_SG_SG_bbb.numbered_sgpr, 38
	.set _ZN9rocsparseL29csrgeam_fill_multipass_kernelILj256ELj32Eii21rocsparse_complex_numIfEEEvllNS_24const_host_device_scalarIT3_EEPKT1_PKT2_PKS4_S5_S8_SB_SD_S8_PS9_PS4_21rocsparse_index_base_SG_SG_bbb.num_named_barrier, 0
	.set _ZN9rocsparseL29csrgeam_fill_multipass_kernelILj256ELj32Eii21rocsparse_complex_numIfEEEvllNS_24const_host_device_scalarIT3_EEPKT1_PKT2_PKS4_S5_S8_SB_SD_S8_PS9_PS4_21rocsparse_index_base_SG_SG_bbb.private_seg_size, 0
	.set _ZN9rocsparseL29csrgeam_fill_multipass_kernelILj256ELj32Eii21rocsparse_complex_numIfEEEvllNS_24const_host_device_scalarIT3_EEPKT1_PKT2_PKS4_S5_S8_SB_SD_S8_PS9_PS4_21rocsparse_index_base_SG_SG_bbb.uses_vcc, 1
	.set _ZN9rocsparseL29csrgeam_fill_multipass_kernelILj256ELj32Eii21rocsparse_complex_numIfEEEvllNS_24const_host_device_scalarIT3_EEPKT1_PKT2_PKS4_S5_S8_SB_SD_S8_PS9_PS4_21rocsparse_index_base_SG_SG_bbb.uses_flat_scratch, 0
	.set _ZN9rocsparseL29csrgeam_fill_multipass_kernelILj256ELj32Eii21rocsparse_complex_numIfEEEvllNS_24const_host_device_scalarIT3_EEPKT1_PKT2_PKS4_S5_S8_SB_SD_S8_PS9_PS4_21rocsparse_index_base_SG_SG_bbb.has_dyn_sized_stack, 0
	.set _ZN9rocsparseL29csrgeam_fill_multipass_kernelILj256ELj32Eii21rocsparse_complex_numIfEEEvllNS_24const_host_device_scalarIT3_EEPKT1_PKT2_PKS4_S5_S8_SB_SD_S8_PS9_PS4_21rocsparse_index_base_SG_SG_bbb.has_recursion, 0
	.set _ZN9rocsparseL29csrgeam_fill_multipass_kernelILj256ELj32Eii21rocsparse_complex_numIfEEEvllNS_24const_host_device_scalarIT3_EEPKT1_PKT2_PKS4_S5_S8_SB_SD_S8_PS9_PS4_21rocsparse_index_base_SG_SG_bbb.has_indirect_call, 0
	.section	.AMDGPU.csdata,"",@progbits
; Kernel info:
; codeLenInByte = 1408
; TotalNumSgprs: 44
; NumVgprs: 32
; NumAgprs: 0
; TotalNumVgprs: 32
; ScratchSize: 0
; MemoryBound: 0
; FloatMode: 240
; IeeeMode: 1
; LDSByteSize: 2304 bytes/workgroup (compile time only)
; SGPRBlocks: 5
; VGPRBlocks: 3
; NumSGPRsForWavesPerEU: 44
; NumVGPRsForWavesPerEU: 32
; AccumOffset: 32
; Occupancy: 8
; WaveLimiterHint : 1
; COMPUTE_PGM_RSRC2:SCRATCH_EN: 0
; COMPUTE_PGM_RSRC2:USER_SGPR: 2
; COMPUTE_PGM_RSRC2:TRAP_HANDLER: 0
; COMPUTE_PGM_RSRC2:TGID_X_EN: 1
; COMPUTE_PGM_RSRC2:TGID_Y_EN: 0
; COMPUTE_PGM_RSRC2:TGID_Z_EN: 0
; COMPUTE_PGM_RSRC2:TIDIG_COMP_CNT: 0
; COMPUTE_PGM_RSRC3_GFX90A:ACCUM_OFFSET: 7
; COMPUTE_PGM_RSRC3_GFX90A:TG_SPLIT: 0
	.section	.text._ZN9rocsparseL29csrgeam_fill_multipass_kernelILj256ELj64Eii21rocsparse_complex_numIfEEEvllNS_24const_host_device_scalarIT3_EEPKT1_PKT2_PKS4_S5_S8_SB_SD_S8_PS9_PS4_21rocsparse_index_base_SG_SG_bbb,"axG",@progbits,_ZN9rocsparseL29csrgeam_fill_multipass_kernelILj256ELj64Eii21rocsparse_complex_numIfEEEvllNS_24const_host_device_scalarIT3_EEPKT1_PKT2_PKS4_S5_S8_SB_SD_S8_PS9_PS4_21rocsparse_index_base_SG_SG_bbb,comdat
	.globl	_ZN9rocsparseL29csrgeam_fill_multipass_kernelILj256ELj64Eii21rocsparse_complex_numIfEEEvllNS_24const_host_device_scalarIT3_EEPKT1_PKT2_PKS4_S5_S8_SB_SD_S8_PS9_PS4_21rocsparse_index_base_SG_SG_bbb ; -- Begin function _ZN9rocsparseL29csrgeam_fill_multipass_kernelILj256ELj64Eii21rocsparse_complex_numIfEEEvllNS_24const_host_device_scalarIT3_EEPKT1_PKT2_PKS4_S5_S8_SB_SD_S8_PS9_PS4_21rocsparse_index_base_SG_SG_bbb
	.p2align	8
	.type	_ZN9rocsparseL29csrgeam_fill_multipass_kernelILj256ELj64Eii21rocsparse_complex_numIfEEEvllNS_24const_host_device_scalarIT3_EEPKT1_PKT2_PKS4_S5_S8_SB_SD_S8_PS9_PS4_21rocsparse_index_base_SG_SG_bbb,@function
_ZN9rocsparseL29csrgeam_fill_multipass_kernelILj256ELj64Eii21rocsparse_complex_numIfEEEvllNS_24const_host_device_scalarIT3_EEPKT1_PKT2_PKS4_S5_S8_SB_SD_S8_PS9_PS4_21rocsparse_index_base_SG_SG_bbb: ; @_ZN9rocsparseL29csrgeam_fill_multipass_kernelILj256ELj64Eii21rocsparse_complex_numIfEEEvllNS_24const_host_device_scalarIT3_EEPKT1_PKT2_PKS4_S5_S8_SB_SD_S8_PS9_PS4_21rocsparse_index_base_SG_SG_bbb
; %bb.0:
	s_load_dwordx8 s[4:11], s[0:1], 0x40
	s_load_dword s3, s[0:1], 0x74
	s_load_dwordx8 s[12:19], s[0:1], 0x0
	s_load_dwordx8 s[20:27], s[0:1], 0x20
	s_load_dwordx2 s[34:35], s[0:1], 0x60
	s_load_dwordx4 s[28:31], s[0:1], 0x68
	s_waitcnt lgkmcnt(0)
	s_bitcmp1_b32 s3, 16
	s_cselect_b64 s[0:1], -1, 0
	s_xor_b64 s[0:1], s[0:1], -1
	s_mov_b32 s37, 0
	v_cndmask_b32_e64 v1, 0, 1, s[0:1]
	s_bitcmp0_b32 s31, 0
	v_cmp_ne_u32_e64 s[0:1], 1, v1
	s_mov_b32 s36, s37
	s_cbranch_scc1 .LBB13_6
; %bb.1:
	s_and_b64 vcc, exec, s[0:1]
	s_mov_b32 s36, s16
	s_cbranch_vccnz .LBB13_3
; %bb.2:
	s_load_dword s36, s[16:17], 0x0
.LBB13_3:
	s_and_b64 vcc, exec, s[0:1]
	s_cbranch_vccnz .LBB13_5
; %bb.4:
	s_load_dword s17, s[16:17], 0x4
.LBB13_5:
	s_waitcnt lgkmcnt(0)
	s_mov_b32 s37, s17
.LBB13_6:
	s_mov_b32 s16, 0
	s_bfe_u32 s3, s3, 0x10008
	s_cmp_eq_u32 s3, 0
	s_mov_b32 s17, s16
	s_cbranch_scc1 .LBB13_12
; %bb.7:
	s_and_b64 vcc, exec, s[0:1]
	s_mov_b32 s16, s24
	s_cbranch_vccnz .LBB13_9
; %bb.8:
	s_load_dword s16, s[24:25], 0x0
.LBB13_9:
	s_and_b64 vcc, exec, s[0:1]
	s_cbranch_vccnz .LBB13_11
; %bb.10:
	s_load_dword s25, s[24:25], 0x4
.LBB13_11:
	s_waitcnt lgkmcnt(0)
	s_mov_b32 s17, s25
.LBB13_12:
	s_lshl_b32 s0, s2, 2
	v_lshrrev_b32_e32 v1, 6, v0
	s_and_b32 s0, s0, 0x3fffffc
	v_or_b32_e32 v2, s0, v1
	v_mov_b32_e32 v3, 0
	v_cmp_gt_i64_e32 vcc, s[12:13], v[2:3]
	s_and_saveexec_b64 s[0:1], vcc
	s_cbranch_execz .LBB13_43
; %bb.13:
	v_lshlrev_b32_e32 v6, 2, v2
	global_load_dwordx2 v[4:5], v6, s[18:19]
	global_load_dwordx2 v[2:3], v6, s[26:27]
	global_load_dword v1, v6, s[8:9]
	s_waitcnt vmcnt(2)
	v_cmp_ge_i32_e32 vcc, v4, v5
	s_and_saveexec_b64 s[0:1], vcc
	s_xor_b64 s[0:1], exec, s[0:1]
	s_or_saveexec_b64 s[0:1], s[0:1]
	v_subrev_u32_e32 v6, s28, v4
	v_mov_b32_e32 v4, s14
	s_xor_b64 exec, exec, s[0:1]
	s_cbranch_execz .LBB13_15
; %bb.14:
	v_ashrrev_i32_e32 v7, 31, v6
	v_lshl_add_u64 v[8:9], v[6:7], 2, s[20:21]
	global_load_dword v4, v[8:9], off
	s_waitcnt vmcnt(0)
	v_subrev_u32_e32 v4, s28, v4
.LBB13_15:
	s_or_b64 exec, exec, s[0:1]
	s_waitcnt vmcnt(1)
	v_cmp_ge_i32_e32 vcc, v2, v3
	v_mov_b32_e32 v25, s14
	s_and_saveexec_b64 s[0:1], vcc
	s_xor_b64 s[0:1], exec, s[0:1]
; %bb.16:
	v_mov_b32_e32 v25, s14
; %bb.17:
	s_or_saveexec_b64 s[0:1], s[0:1]
	v_subrev_u32_e32 v10, s29, v2
	v_mov_b32_e32 v2, v25
	s_xor_b64 exec, exec, s[0:1]
	s_cbranch_execz .LBB13_19
; %bb.18:
	v_ashrrev_i32_e32 v11, 31, v10
	v_lshl_add_u64 v[8:9], v[10:11], 2, s[4:5]
	global_load_dword v2, v[8:9], off
	s_waitcnt vmcnt(0)
	v_subrev_u32_e32 v2, s29, v2
.LBB13_19:
	s_or_b64 exec, exec, s[0:1]
	v_subrev_u32_e32 v13, s28, v5
	v_mbcnt_lo_u32_b32 v5, -1, 0
	v_subrev_u32_e32 v14, s29, v3
	v_and_b32_e32 v3, 63, v0
	v_mbcnt_hi_u32_b32 v5, -1, v5
	v_and_b32_e32 v7, 0xc0, v0
	v_min_i32_e32 v8, v2, v4
	v_add_u32_e32 v2, v6, v3
	v_and_b32_e32 v6, 64, v5
	v_bitop3_b32 v0, v0, 63, v0 bitop3:0xc
	v_or_b32_e32 v11, 0x800, v7
	v_lshlrev_b32_e32 v12, 3, v7
	v_add_u32_e32 v9, 64, v6
	v_lshrrev_b64 v[6:7], v0, -1
	v_xor_b32_e32 v0, 32, v5
	v_cmp_lt_i32_e32 vcc, v0, v9
	s_waitcnt vmcnt(0)
	v_subrev_u32_e32 v15, s30, v1
	v_mov_b32_e32 v1, 0
	v_cndmask_b32_e32 v0, v5, v0, vcc
	v_lshlrev_b32_e32 v17, 2, v0
	v_xor_b32_e32 v0, 16, v5
	v_cmp_lt_i32_e32 vcc, v0, v9
	v_add_u32_e32 v4, v10, v3
	v_lshl_or_b32 v10, v3, 3, v12
	v_cndmask_b32_e32 v0, v5, v0, vcc
	v_lshlrev_b32_e32 v18, 2, v0
	v_xor_b32_e32 v0, 8, v5
	v_cmp_lt_i32_e32 vcc, v0, v9
	s_xor_b32 s2, s37, 0x80000000
	s_xor_b32 s8, s17, 0x80000000
	v_cndmask_b32_e32 v0, v5, v0, vcc
	v_lshlrev_b32_e32 v19, 2, v0
	v_xor_b32_e32 v0, 4, v5
	v_cmp_lt_i32_e32 vcc, v0, v9
	v_add_u32_e32 v16, s30, v3
	s_mov_b32 s3, s36
	v_cndmask_b32_e32 v0, v5, v0, vcc
	v_lshlrev_b32_e32 v20, 2, v0
	v_xor_b32_e32 v0, 2, v5
	v_cmp_lt_i32_e32 vcc, v0, v9
	s_mov_b32 s9, s16
	s_mov_b64 s[12:13], 0
	v_cndmask_b32_e32 v0, v5, v0, vcc
	v_lshlrev_b32_e32 v21, 2, v0
	v_xor_b32_e32 v0, 1, v5
	v_cmp_lt_i32_e32 vcc, v0, v9
	v_add_u32_e32 v23, v11, v3
	v_mov_b32_e32 v26, v1
	v_cndmask_b32_e32 v0, v5, v0, vcc
	v_lshlrev_b32_e32 v22, 2, v0
	v_mov_b32_e32 v27, v1
	v_mov_b32_e32 v24, 1
	s_branch .LBB13_21
.LBB13_20:                              ;   in Loop: Header=BB13_21 Depth=1
	s_or_b64 exec, exec, s[18:19]
	ds_bpermute_b32 v0, v17, v9
	s_bcnt1_i32_b64 s0, vcc
	v_add_u32_e32 v15, s0, v15
	s_waitcnt lgkmcnt(0)
	v_min_i32_e32 v0, v0, v9
	ds_bpermute_b32 v3, v18, v0
	s_waitcnt lgkmcnt(0)
	v_min_i32_e32 v0, v3, v0
	ds_bpermute_b32 v3, v19, v0
	s_waitcnt lgkmcnt(0)
	v_min_i32_e32 v0, v3, v0
	ds_bpermute_b32 v3, v20, v0
	s_waitcnt lgkmcnt(0)
	v_min_i32_e32 v0, v3, v0
	ds_bpermute_b32 v3, v21, v0
	s_waitcnt lgkmcnt(0)
	v_min_i32_e32 v0, v3, v0
	ds_bpermute_b32 v3, v22, v0
	s_waitcnt lgkmcnt(0)
	v_min_i32_e32 v8, v3, v0
	v_ashrrev_i32_e32 v9, 31, v8
	v_cmp_le_i64_e32 vcc, s[14:15], v[8:9]
	s_or_b64 s[12:13], vcc, s[12:13]
	s_andn2_b64 exec, exec, s[12:13]
	s_cbranch_execz .LBB13_43
.LBB13_21:                              ; =>This Loop Header: Depth=1
                                        ;     Child Loop BB13_24 Depth 2
                                        ;     Child Loop BB13_34 Depth 2
	v_cmp_lt_i32_e32 vcc, v2, v13
	v_mov_b32_e32 v9, v25
	ds_write_b8 v23, v1
	ds_write_b64 v10, v[26:27]
	s_waitcnt lgkmcnt(0)
	s_and_saveexec_b64 s[18:19], vcc
	s_cbranch_execz .LBB13_31
; %bb.22:                               ;   in Loop: Header=BB13_21 Depth=1
	s_mov_b64 s[24:25], 0
	v_mov_b32_e32 v9, v25
	s_branch .LBB13_24
.LBB13_23:                              ;   in Loop: Header=BB13_24 Depth=2
	s_or_b64 exec, exec, s[26:27]
	s_and_b64 s[0:1], exec, s[0:1]
	s_or_b64 s[24:25], s[0:1], s[24:25]
	s_andn2_b64 exec, exec, s[24:25]
	s_cbranch_execz .LBB13_30
.LBB13_24:                              ;   Parent Loop BB13_21 Depth=1
                                        ; =>  This Inner Loop Header: Depth=2
	v_ashrrev_i32_e32 v3, 31, v2
	v_lshl_add_u64 v[28:29], v[2:3], 2, s[20:21]
	global_load_dword v0, v[28:29], off
	s_waitcnt vmcnt(0)
	v_subrev_u32_e32 v5, s28, v0
	v_sub_u32_e32 v0, v5, v8
	v_cmp_gt_u32_e32 vcc, 64, v0
	v_cmp_lt_u32_e64 s[0:1], 63, v0
	s_and_saveexec_b64 s[26:27], s[0:1]
	s_xor_b64 s[0:1], exec, s[26:27]
	s_cbranch_execnz .LBB13_27
; %bb.25:                               ;   in Loop: Header=BB13_24 Depth=2
	s_andn2_saveexec_b64 s[0:1], s[0:1]
	s_cbranch_execnz .LBB13_28
.LBB13_26:                              ;   in Loop: Header=BB13_24 Depth=2
	s_or_b64 exec, exec, s[0:1]
	s_mov_b64 s[0:1], -1
	s_and_saveexec_b64 s[26:27], vcc
	s_cbranch_execz .LBB13_23
	s_branch .LBB13_29
.LBB13_27:                              ;   in Loop: Header=BB13_24 Depth=2
	v_min_i32_e32 v9, v5, v9
                                        ; implicit-def: $vgpr0
	s_andn2_saveexec_b64 s[0:1], s[0:1]
	s_cbranch_execz .LBB13_26
.LBB13_28:                              ;   in Loop: Header=BB13_24 Depth=2
	v_lshl_add_u64 v[28:29], v[2:3], 3, s[22:23]
	global_load_dwordx2 v[28:29], v[28:29], off
	v_add_u32_e32 v3, v11, v0
	v_lshl_add_u32 v0, v0, 3, v12
	ds_write_b8 v3, v24
	s_waitcnt vmcnt(0)
	v_pk_mul_f32 v[30:31], v[28:29], s[2:3] op_sel:[1,0]
	s_nop 0
	v_pk_fma_f32 v[28:29], s[36:37], v[28:29], v[30:31] op_sel_hi:[1,0,1]
	ds_write_b64 v0, v[28:29]
	s_or_b64 exec, exec, s[0:1]
	s_mov_b64 s[0:1], -1
	s_and_saveexec_b64 s[26:27], vcc
	s_cbranch_execz .LBB13_23
.LBB13_29:                              ;   in Loop: Header=BB13_24 Depth=2
	v_add_u32_e32 v2, 64, v2
	v_cmp_ge_i32_e32 vcc, v2, v13
	s_orn2_b64 s[0:1], vcc, exec
	s_branch .LBB13_23
.LBB13_30:                              ;   in Loop: Header=BB13_21 Depth=1
	s_or_b64 exec, exec, s[24:25]
.LBB13_31:                              ;   in Loop: Header=BB13_21 Depth=1
	s_or_b64 exec, exec, s[18:19]
	v_cmp_lt_i32_e32 vcc, v4, v14
	s_waitcnt lgkmcnt(0)
	s_and_saveexec_b64 s[18:19], vcc
	s_cbranch_execz .LBB13_41
; %bb.32:                               ;   in Loop: Header=BB13_21 Depth=1
	s_mov_b64 s[24:25], 0
	s_branch .LBB13_34
.LBB13_33:                              ;   in Loop: Header=BB13_34 Depth=2
	s_or_b64 exec, exec, s[26:27]
	s_and_b64 s[0:1], exec, s[0:1]
	s_or_b64 s[24:25], s[0:1], s[24:25]
	s_andn2_b64 exec, exec, s[24:25]
	s_cbranch_execz .LBB13_40
.LBB13_34:                              ;   Parent Loop BB13_21 Depth=1
                                        ; =>  This Inner Loop Header: Depth=2
	v_ashrrev_i32_e32 v5, 31, v4
	v_lshl_add_u64 v[28:29], v[4:5], 2, s[4:5]
	global_load_dword v0, v[28:29], off
	s_waitcnt vmcnt(0)
	v_subrev_u32_e32 v3, s29, v0
	v_sub_u32_e32 v0, v3, v8
	v_cmp_gt_u32_e32 vcc, 64, v0
	v_cmp_lt_u32_e64 s[0:1], 63, v0
	s_and_saveexec_b64 s[26:27], s[0:1]
	s_xor_b64 s[0:1], exec, s[26:27]
	s_cbranch_execnz .LBB13_37
; %bb.35:                               ;   in Loop: Header=BB13_34 Depth=2
	s_andn2_saveexec_b64 s[0:1], s[0:1]
	s_cbranch_execnz .LBB13_38
.LBB13_36:                              ;   in Loop: Header=BB13_34 Depth=2
	s_or_b64 exec, exec, s[0:1]
	s_mov_b64 s[0:1], -1
	s_and_saveexec_b64 s[26:27], vcc
	s_cbranch_execz .LBB13_33
	s_branch .LBB13_39
.LBB13_37:                              ;   in Loop: Header=BB13_34 Depth=2
	v_min_i32_e32 v9, v3, v9
                                        ; implicit-def: $vgpr0
	s_andn2_saveexec_b64 s[0:1], s[0:1]
	s_cbranch_execz .LBB13_36
.LBB13_38:                              ;   in Loop: Header=BB13_34 Depth=2
	v_lshl_add_u64 v[28:29], v[4:5], 3, s[6:7]
	global_load_dwordx2 v[28:29], v[28:29], off
	v_lshl_add_u32 v3, v0, 3, v12
	ds_read_b64 v[30:31], v3
	v_add_u32_e32 v0, v11, v0
	ds_write_b8 v0, v24
	s_waitcnt vmcnt(0) lgkmcnt(1)
	v_pk_fma_f32 v[30:31], s[16:17], v[28:29], v[30:31] op_sel_hi:[1,0,1]
	s_nop 0
	v_pk_fma_f32 v[28:29], s[8:9], v[28:29], v[30:31] op_sel:[0,1,0]
	ds_write_b64 v3, v[28:29]
	s_or_b64 exec, exec, s[0:1]
	s_mov_b64 s[0:1], -1
	s_and_saveexec_b64 s[26:27], vcc
	s_cbranch_execz .LBB13_33
.LBB13_39:                              ;   in Loop: Header=BB13_34 Depth=2
	v_add_u32_e32 v4, 64, v4
	v_cmp_ge_i32_e32 vcc, v4, v14
	s_orn2_b64 s[0:1], vcc, exec
	s_branch .LBB13_33
.LBB13_40:                              ;   in Loop: Header=BB13_21 Depth=1
	s_or_b64 exec, exec, s[24:25]
.LBB13_41:                              ;   in Loop: Header=BB13_21 Depth=1
	s_or_b64 exec, exec, s[18:19]
	s_waitcnt lgkmcnt(0)
	ds_read_u8 v0, v23
	s_waitcnt lgkmcnt(0)
	v_and_b32_e32 v3, 1, v0
	v_cmp_eq_u32_e64 s[0:1], 1, v3
	v_cmp_ne_u16_e32 vcc, 0, v0
	s_and_saveexec_b64 s[18:19], s[0:1]
	s_cbranch_execz .LBB13_20
; %bb.42:                               ;   in Loop: Header=BB13_21 Depth=1
	v_and_b32_e32 v3, vcc_lo, v6
	v_and_b32_e32 v0, vcc_hi, v7
	v_bcnt_u32_b32 v3, v3, 0
	ds_read_b64 v[28:29], v10
	v_bcnt_u32_b32 v0, v0, v3
	v_add3_u32 v0, v15, v0, -1
	v_add_u32_e32 v3, v16, v8
	v_lshl_add_u64 v[30:31], v[0:1], 2, s[10:11]
	global_store_dword v[30:31], v3, off
	v_lshl_add_u64 v[30:31], v[0:1], 3, s[34:35]
	s_waitcnt lgkmcnt(0)
	global_store_dwordx2 v[30:31], v[28:29], off
	s_branch .LBB13_20
.LBB13_43:
	s_endpgm
	.section	.rodata,"a",@progbits
	.p2align	6, 0x0
	.amdhsa_kernel _ZN9rocsparseL29csrgeam_fill_multipass_kernelILj256ELj64Eii21rocsparse_complex_numIfEEEvllNS_24const_host_device_scalarIT3_EEPKT1_PKT2_PKS4_S5_S8_SB_SD_S8_PS9_PS4_21rocsparse_index_base_SG_SG_bbb
		.amdhsa_group_segment_fixed_size 2304
		.amdhsa_private_segment_fixed_size 0
		.amdhsa_kernarg_size 120
		.amdhsa_user_sgpr_count 2
		.amdhsa_user_sgpr_dispatch_ptr 0
		.amdhsa_user_sgpr_queue_ptr 0
		.amdhsa_user_sgpr_kernarg_segment_ptr 1
		.amdhsa_user_sgpr_dispatch_id 0
		.amdhsa_user_sgpr_kernarg_preload_length 0
		.amdhsa_user_sgpr_kernarg_preload_offset 0
		.amdhsa_user_sgpr_private_segment_size 0
		.amdhsa_uses_dynamic_stack 0
		.amdhsa_enable_private_segment 0
		.amdhsa_system_sgpr_workgroup_id_x 1
		.amdhsa_system_sgpr_workgroup_id_y 0
		.amdhsa_system_sgpr_workgroup_id_z 0
		.amdhsa_system_sgpr_workgroup_info 0
		.amdhsa_system_vgpr_workitem_id 0
		.amdhsa_next_free_vgpr 32
		.amdhsa_next_free_sgpr 38
		.amdhsa_accum_offset 32
		.amdhsa_reserve_vcc 1
		.amdhsa_float_round_mode_32 0
		.amdhsa_float_round_mode_16_64 0
		.amdhsa_float_denorm_mode_32 3
		.amdhsa_float_denorm_mode_16_64 3
		.amdhsa_dx10_clamp 1
		.amdhsa_ieee_mode 1
		.amdhsa_fp16_overflow 0
		.amdhsa_tg_split 0
		.amdhsa_exception_fp_ieee_invalid_op 0
		.amdhsa_exception_fp_denorm_src 0
		.amdhsa_exception_fp_ieee_div_zero 0
		.amdhsa_exception_fp_ieee_overflow 0
		.amdhsa_exception_fp_ieee_underflow 0
		.amdhsa_exception_fp_ieee_inexact 0
		.amdhsa_exception_int_div_zero 0
	.end_amdhsa_kernel
	.section	.text._ZN9rocsparseL29csrgeam_fill_multipass_kernelILj256ELj64Eii21rocsparse_complex_numIfEEEvllNS_24const_host_device_scalarIT3_EEPKT1_PKT2_PKS4_S5_S8_SB_SD_S8_PS9_PS4_21rocsparse_index_base_SG_SG_bbb,"axG",@progbits,_ZN9rocsparseL29csrgeam_fill_multipass_kernelILj256ELj64Eii21rocsparse_complex_numIfEEEvllNS_24const_host_device_scalarIT3_EEPKT1_PKT2_PKS4_S5_S8_SB_SD_S8_PS9_PS4_21rocsparse_index_base_SG_SG_bbb,comdat
.Lfunc_end13:
	.size	_ZN9rocsparseL29csrgeam_fill_multipass_kernelILj256ELj64Eii21rocsparse_complex_numIfEEEvllNS_24const_host_device_scalarIT3_EEPKT1_PKT2_PKS4_S5_S8_SB_SD_S8_PS9_PS4_21rocsparse_index_base_SG_SG_bbb, .Lfunc_end13-_ZN9rocsparseL29csrgeam_fill_multipass_kernelILj256ELj64Eii21rocsparse_complex_numIfEEEvllNS_24const_host_device_scalarIT3_EEPKT1_PKT2_PKS4_S5_S8_SB_SD_S8_PS9_PS4_21rocsparse_index_base_SG_SG_bbb
                                        ; -- End function
	.set _ZN9rocsparseL29csrgeam_fill_multipass_kernelILj256ELj64Eii21rocsparse_complex_numIfEEEvllNS_24const_host_device_scalarIT3_EEPKT1_PKT2_PKS4_S5_S8_SB_SD_S8_PS9_PS4_21rocsparse_index_base_SG_SG_bbb.num_vgpr, 32
	.set _ZN9rocsparseL29csrgeam_fill_multipass_kernelILj256ELj64Eii21rocsparse_complex_numIfEEEvllNS_24const_host_device_scalarIT3_EEPKT1_PKT2_PKS4_S5_S8_SB_SD_S8_PS9_PS4_21rocsparse_index_base_SG_SG_bbb.num_agpr, 0
	.set _ZN9rocsparseL29csrgeam_fill_multipass_kernelILj256ELj64Eii21rocsparse_complex_numIfEEEvllNS_24const_host_device_scalarIT3_EEPKT1_PKT2_PKS4_S5_S8_SB_SD_S8_PS9_PS4_21rocsparse_index_base_SG_SG_bbb.numbered_sgpr, 38
	.set _ZN9rocsparseL29csrgeam_fill_multipass_kernelILj256ELj64Eii21rocsparse_complex_numIfEEEvllNS_24const_host_device_scalarIT3_EEPKT1_PKT2_PKS4_S5_S8_SB_SD_S8_PS9_PS4_21rocsparse_index_base_SG_SG_bbb.num_named_barrier, 0
	.set _ZN9rocsparseL29csrgeam_fill_multipass_kernelILj256ELj64Eii21rocsparse_complex_numIfEEEvllNS_24const_host_device_scalarIT3_EEPKT1_PKT2_PKS4_S5_S8_SB_SD_S8_PS9_PS4_21rocsparse_index_base_SG_SG_bbb.private_seg_size, 0
	.set _ZN9rocsparseL29csrgeam_fill_multipass_kernelILj256ELj64Eii21rocsparse_complex_numIfEEEvllNS_24const_host_device_scalarIT3_EEPKT1_PKT2_PKS4_S5_S8_SB_SD_S8_PS9_PS4_21rocsparse_index_base_SG_SG_bbb.uses_vcc, 1
	.set _ZN9rocsparseL29csrgeam_fill_multipass_kernelILj256ELj64Eii21rocsparse_complex_numIfEEEvllNS_24const_host_device_scalarIT3_EEPKT1_PKT2_PKS4_S5_S8_SB_SD_S8_PS9_PS4_21rocsparse_index_base_SG_SG_bbb.uses_flat_scratch, 0
	.set _ZN9rocsparseL29csrgeam_fill_multipass_kernelILj256ELj64Eii21rocsparse_complex_numIfEEEvllNS_24const_host_device_scalarIT3_EEPKT1_PKT2_PKS4_S5_S8_SB_SD_S8_PS9_PS4_21rocsparse_index_base_SG_SG_bbb.has_dyn_sized_stack, 0
	.set _ZN9rocsparseL29csrgeam_fill_multipass_kernelILj256ELj64Eii21rocsparse_complex_numIfEEEvllNS_24const_host_device_scalarIT3_EEPKT1_PKT2_PKS4_S5_S8_SB_SD_S8_PS9_PS4_21rocsparse_index_base_SG_SG_bbb.has_recursion, 0
	.set _ZN9rocsparseL29csrgeam_fill_multipass_kernelILj256ELj64Eii21rocsparse_complex_numIfEEEvllNS_24const_host_device_scalarIT3_EEPKT1_PKT2_PKS4_S5_S8_SB_SD_S8_PS9_PS4_21rocsparse_index_base_SG_SG_bbb.has_indirect_call, 0
	.section	.AMDGPU.csdata,"",@progbits
; Kernel info:
; codeLenInByte = 1452
; TotalNumSgprs: 44
; NumVgprs: 32
; NumAgprs: 0
; TotalNumVgprs: 32
; ScratchSize: 0
; MemoryBound: 0
; FloatMode: 240
; IeeeMode: 1
; LDSByteSize: 2304 bytes/workgroup (compile time only)
; SGPRBlocks: 5
; VGPRBlocks: 3
; NumSGPRsForWavesPerEU: 44
; NumVGPRsForWavesPerEU: 32
; AccumOffset: 32
; Occupancy: 8
; WaveLimiterHint : 1
; COMPUTE_PGM_RSRC2:SCRATCH_EN: 0
; COMPUTE_PGM_RSRC2:USER_SGPR: 2
; COMPUTE_PGM_RSRC2:TRAP_HANDLER: 0
; COMPUTE_PGM_RSRC2:TGID_X_EN: 1
; COMPUTE_PGM_RSRC2:TGID_Y_EN: 0
; COMPUTE_PGM_RSRC2:TGID_Z_EN: 0
; COMPUTE_PGM_RSRC2:TIDIG_COMP_CNT: 0
; COMPUTE_PGM_RSRC3_GFX90A:ACCUM_OFFSET: 7
; COMPUTE_PGM_RSRC3_GFX90A:TG_SPLIT: 0
	.section	.text._ZN9rocsparseL29csrgeam_fill_multipass_kernelILj256ELj32Eli21rocsparse_complex_numIfEEEvllNS_24const_host_device_scalarIT3_EEPKT1_PKT2_PKS4_S5_S8_SB_SD_S8_PS9_PS4_21rocsparse_index_base_SG_SG_bbb,"axG",@progbits,_ZN9rocsparseL29csrgeam_fill_multipass_kernelILj256ELj32Eli21rocsparse_complex_numIfEEEvllNS_24const_host_device_scalarIT3_EEPKT1_PKT2_PKS4_S5_S8_SB_SD_S8_PS9_PS4_21rocsparse_index_base_SG_SG_bbb,comdat
	.globl	_ZN9rocsparseL29csrgeam_fill_multipass_kernelILj256ELj32Eli21rocsparse_complex_numIfEEEvllNS_24const_host_device_scalarIT3_EEPKT1_PKT2_PKS4_S5_S8_SB_SD_S8_PS9_PS4_21rocsparse_index_base_SG_SG_bbb ; -- Begin function _ZN9rocsparseL29csrgeam_fill_multipass_kernelILj256ELj32Eli21rocsparse_complex_numIfEEEvllNS_24const_host_device_scalarIT3_EEPKT1_PKT2_PKS4_S5_S8_SB_SD_S8_PS9_PS4_21rocsparse_index_base_SG_SG_bbb
	.p2align	8
	.type	_ZN9rocsparseL29csrgeam_fill_multipass_kernelILj256ELj32Eli21rocsparse_complex_numIfEEEvllNS_24const_host_device_scalarIT3_EEPKT1_PKT2_PKS4_S5_S8_SB_SD_S8_PS9_PS4_21rocsparse_index_base_SG_SG_bbb,@function
_ZN9rocsparseL29csrgeam_fill_multipass_kernelILj256ELj32Eli21rocsparse_complex_numIfEEEvllNS_24const_host_device_scalarIT3_EEPKT1_PKT2_PKS4_S5_S8_SB_SD_S8_PS9_PS4_21rocsparse_index_base_SG_SG_bbb: ; @_ZN9rocsparseL29csrgeam_fill_multipass_kernelILj256ELj32Eli21rocsparse_complex_numIfEEEvllNS_24const_host_device_scalarIT3_EEPKT1_PKT2_PKS4_S5_S8_SB_SD_S8_PS9_PS4_21rocsparse_index_base_SG_SG_bbb
; %bb.0:
	s_load_dwordx8 s[4:11], s[0:1], 0x40
	s_load_dword s3, s[0:1], 0x74
	s_load_dwordx8 s[12:19], s[0:1], 0x0
	s_load_dwordx8 s[20:27], s[0:1], 0x20
	s_load_dwordx2 s[34:35], s[0:1], 0x60
	s_load_dwordx4 s[28:31], s[0:1], 0x68
	s_waitcnt lgkmcnt(0)
	s_bitcmp1_b32 s3, 16
	s_cselect_b64 s[0:1], -1, 0
	s_xor_b64 s[0:1], s[0:1], -1
	s_mov_b32 s37, 0
	v_cndmask_b32_e64 v1, 0, 1, s[0:1]
	s_bitcmp0_b32 s31, 0
	v_cmp_ne_u32_e64 s[0:1], 1, v1
	s_mov_b32 s36, s37
	s_cbranch_scc1 .LBB14_6
; %bb.1:
	s_and_b64 vcc, exec, s[0:1]
	s_mov_b32 s36, s16
	s_cbranch_vccnz .LBB14_3
; %bb.2:
	s_load_dword s36, s[16:17], 0x0
.LBB14_3:
	s_and_b64 vcc, exec, s[0:1]
	s_cbranch_vccnz .LBB14_5
; %bb.4:
	s_load_dword s17, s[16:17], 0x4
.LBB14_5:
	s_waitcnt lgkmcnt(0)
	s_mov_b32 s37, s17
.LBB14_6:
	s_mov_b32 s16, 0
	s_bfe_u32 s3, s3, 0x10008
	s_cmp_eq_u32 s3, 0
	s_mov_b32 s17, s16
	s_cbranch_scc1 .LBB14_12
; %bb.7:
	s_and_b64 vcc, exec, s[0:1]
	s_mov_b32 s16, s24
	s_cbranch_vccnz .LBB14_9
; %bb.8:
	s_load_dword s16, s[24:25], 0x0
.LBB14_9:
	s_and_b64 vcc, exec, s[0:1]
	s_cbranch_vccnz .LBB14_11
; %bb.10:
	s_load_dword s25, s[24:25], 0x4
.LBB14_11:
	s_waitcnt lgkmcnt(0)
	s_mov_b32 s17, s25
.LBB14_12:
	s_lshl_b32 s0, s2, 3
	v_lshrrev_b32_e32 v1, 5, v0
	s_and_b32 s0, s0, 0x7fffff8
	v_or_b32_e32 v2, s0, v1
	v_mov_b32_e32 v3, 0
	v_cmp_gt_i64_e32 vcc, s[12:13], v[2:3]
	s_and_saveexec_b64 s[0:1], vcc
	s_cbranch_execz .LBB14_43
; %bb.13:
	v_lshlrev_b32_e32 v1, 3, v2
	global_load_dwordx4 v[2:5], v1, s[18:19]
	global_load_dwordx4 v[6:9], v1, s[26:27]
	global_load_dwordx2 v[12:13], v1, s[8:9]
	s_waitcnt vmcnt(2)
	v_subrev_co_u32_e32 v10, vcc, s28, v2
	s_nop 1
	v_subbrev_co_u32_e32 v11, vcc, 0, v3, vcc
	v_cmp_ge_i64_e32 vcc, v[2:3], v[4:5]
	s_and_saveexec_b64 s[0:1], vcc
	s_xor_b64 s[0:1], exec, s[0:1]
	s_or_saveexec_b64 s[0:1], s[0:1]
	v_mov_b32_e32 v1, s14
	s_xor_b64 exec, exec, s[0:1]
	s_cbranch_execz .LBB14_15
; %bb.14:
	v_lshl_add_u64 v[2:3], v[10:11], 2, s[20:21]
	global_load_dword v1, v[2:3], off
	s_waitcnt vmcnt(0)
	v_subrev_u32_e32 v1, s28, v1
.LBB14_15:
	s_or_b64 exec, exec, s[0:1]
	s_waitcnt vmcnt(1)
	v_subrev_co_u32_e32 v16, vcc, s29, v6
	s_mov_b32 s2, s29
	s_nop 0
	v_subbrev_co_u32_e32 v17, vcc, 0, v7, vcc
	v_cmp_ge_i64_e32 vcc, v[6:7], v[8:9]
	v_mov_b32_e32 v31, s14
	s_and_saveexec_b64 s[0:1], vcc
	s_xor_b64 s[0:1], exec, s[0:1]
; %bb.16:
	v_mov_b32_e32 v31, s14
; %bb.17:
	s_or_saveexec_b64 s[0:1], s[0:1]
	v_mov_b32_e32 v14, v31
	s_xor_b64 exec, exec, s[0:1]
	s_cbranch_execz .LBB14_19
; %bb.18:
	v_lshl_add_u64 v[2:3], v[16:17], 2, s[4:5]
	global_load_dword v2, v[2:3], off
	s_waitcnt vmcnt(0)
	v_subrev_u32_e32 v14, s29, v2
.LBB14_19:
	s_or_b64 exec, exec, s[0:1]
	v_and_b32_e32 v2, 0xe0, v0
	v_or_b32_e32 v18, 0x800, v2
	v_lshlrev_b32_e32 v19, 3, v2
	v_subrev_co_u32_e32 v2, vcc, s28, v4
	v_min_i32_e32 v14, v14, v1
	s_nop 0
	v_subbrev_co_u32_e32 v3, vcc, 0, v5, vcc
	v_subrev_co_u32_e32 v4, vcc, s2, v8
	v_mbcnt_lo_u32_b32 v1, -1, 0
	s_nop 0
	v_subbrev_co_u32_e32 v5, vcc, 0, v9, vcc
	v_mbcnt_hi_u32_b32 v1, -1, v1
	s_waitcnt vmcnt(0)
	v_subrev_co_u32_e32 v6, vcc, s30, v12
	v_and_b32_e32 v8, 31, v0
	v_and_b32_e32 v15, 64, v1
	v_bitop3_b32 v0, v0, 31, v0 bitop3:0xc
	v_subbrev_co_u32_e32 v7, vcc, 0, v13, vcc
	v_add_u32_e32 v15, 64, v15
	v_lshrrev_b32_e64 v21, v0, -1
	v_xor_b32_e32 v0, 16, v1
	v_cmp_lt_i32_e32 vcc, v0, v15
	s_xor_b32 s8, s37, 0x80000000
	s_xor_b32 s12, s17, 0x80000000
	v_cndmask_b32_e32 v0, v1, v0, vcc
	v_lshlrev_b32_e32 v23, 2, v0
	v_xor_b32_e32 v0, 8, v1
	v_cmp_lt_i32_e32 vcc, v0, v15
	s_add_u32 s18, s22, 4
	s_addc_u32 s19, s23, 0
	v_cndmask_b32_e32 v0, v1, v0, vcc
	v_lshlrev_b32_e32 v24, 2, v0
	v_xor_b32_e32 v0, 4, v1
	v_cmp_lt_i32_e32 vcc, v0, v15
	v_mov_b32_e32 v9, 0
	s_add_u32 s6, s6, 4
	v_cndmask_b32_e32 v0, v1, v0, vcc
	v_lshlrev_b32_e32 v25, 2, v0
	v_xor_b32_e32 v0, 2, v1
	v_cmp_lt_i32_e32 vcc, v0, v15
	s_mov_b32 s3, 0
	v_lshl_add_u64 v[10:11], v[10:11], 0, v[8:9]
	v_cndmask_b32_e32 v0, v1, v0, vcc
	v_lshlrev_b32_e32 v26, 2, v0
	v_xor_b32_e32 v0, 1, v1
	v_cmp_lt_i32_e32 vcc, v0, v15
	v_lshl_add_u64 v[12:13], v[16:17], 0, v[8:9]
	v_lshl_or_b32 v20, v8, 3, v19
	v_cndmask_b32_e32 v0, v1, v0, vcc
	v_add_u32_e32 v22, s30, v8
	v_lshlrev_b32_e32 v27, 2, v0
	s_mov_b32 s9, s36
	s_mov_b32 s13, s16
	s_addc_u32 s7, s7, 0
	s_mov_b64 s[22:23], 0
	v_add_u32_e32 v28, v18, v8
	v_mov_b32_e32 v32, v9
	v_mov_b32_e32 v33, v9
	;; [unrolled: 1-line block ×3, first 2 shown]
	s_mov_b64 s[24:25], 0x80
	s_mov_b64 s[26:27], 0x100
	s_branch .LBB14_21
.LBB14_20:                              ;   in Loop: Header=BB14_21 Depth=1
	s_or_b64 exec, exec, s[30:31]
	ds_bpermute_b32 v0, v23, v15
	s_bcnt1_i32_b64 s2, vcc
	v_lshl_add_u64 v[6:7], s[2:3], 0, v[6:7]
	s_waitcnt lgkmcnt(0)
	v_min_i32_e32 v0, v0, v15
	ds_bpermute_b32 v1, v24, v0
	s_waitcnt lgkmcnt(0)
	v_min_i32_e32 v0, v1, v0
	ds_bpermute_b32 v1, v25, v0
	;; [unrolled: 3-line block ×4, first 2 shown]
	s_waitcnt lgkmcnt(0)
	v_min_i32_e32 v14, v1, v0
	v_ashrrev_i32_e32 v15, 31, v14
	v_cmp_le_i64_e32 vcc, s[14:15], v[14:15]
	s_or_b64 s[22:23], vcc, s[22:23]
	s_andn2_b64 exec, exec, s[22:23]
	s_cbranch_execz .LBB14_43
.LBB14_21:                              ; =>This Loop Header: Depth=1
                                        ;     Child Loop BB14_24 Depth 2
                                        ;     Child Loop BB14_34 Depth 2
	v_cmp_lt_i64_e32 vcc, v[10:11], v[2:3]
	v_mov_b32_e32 v15, v31
	ds_write_b8 v28, v9
	ds_write_b64 v20, v[32:33]
	s_waitcnt lgkmcnt(0)
	s_and_saveexec_b64 s[30:31], vcc
	s_cbranch_execz .LBB14_31
; %bb.22:                               ;   in Loop: Header=BB14_21 Depth=1
	v_lshl_add_u64 v[0:1], v[10:11], 2, s[20:21]
	v_lshl_add_u64 v[16:17], v[10:11], 3, s[18:19]
	s_mov_b64 s[38:39], 0
	v_mov_b32_e32 v15, v31
	s_branch .LBB14_24
.LBB14_23:                              ;   in Loop: Header=BB14_24 Depth=2
	s_or_b64 exec, exec, s[40:41]
	s_and_b64 s[0:1], exec, s[0:1]
	s_or_b64 s[38:39], s[0:1], s[38:39]
	s_andn2_b64 exec, exec, s[38:39]
	s_cbranch_execz .LBB14_30
.LBB14_24:                              ;   Parent Loop BB14_21 Depth=1
                                        ; =>  This Inner Loop Header: Depth=2
	global_load_dword v8, v[0:1], off
	s_waitcnt vmcnt(0)
	v_subrev_u32_e32 v30, s28, v8
	v_sub_u32_e32 v8, v30, v14
	v_cmp_gt_u32_e32 vcc, 32, v8
	v_cmp_lt_u32_e64 s[0:1], 31, v8
	s_and_saveexec_b64 s[40:41], s[0:1]
	s_xor_b64 s[0:1], exec, s[40:41]
	s_cbranch_execnz .LBB14_27
; %bb.25:                               ;   in Loop: Header=BB14_24 Depth=2
	s_andn2_saveexec_b64 s[0:1], s[0:1]
	s_cbranch_execnz .LBB14_28
.LBB14_26:                              ;   in Loop: Header=BB14_24 Depth=2
	s_or_b64 exec, exec, s[0:1]
	s_mov_b64 s[0:1], -1
	s_and_saveexec_b64 s[40:41], vcc
	s_cbranch_execz .LBB14_23
	s_branch .LBB14_29
.LBB14_27:                              ;   in Loop: Header=BB14_24 Depth=2
	v_min_i32_e32 v15, v30, v15
                                        ; implicit-def: $vgpr8
	s_andn2_saveexec_b64 s[0:1], s[0:1]
	s_cbranch_execz .LBB14_26
.LBB14_28:                              ;   in Loop: Header=BB14_24 Depth=2
	global_load_dwordx2 v[34:35], v[16:17], off offset:-4
	v_add_u32_e32 v30, v18, v8
	v_lshl_add_u32 v8, v8, 3, v19
	ds_write_b8 v30, v29
	s_waitcnt vmcnt(0)
	v_pk_mul_f32 v[36:37], v[34:35], s[8:9] op_sel:[1,0]
	s_nop 0
	v_pk_fma_f32 v[34:35], s[36:37], v[34:35], v[36:37] op_sel_hi:[1,0,1]
	ds_write_b64 v8, v[34:35]
	s_or_b64 exec, exec, s[0:1]
	s_mov_b64 s[0:1], -1
	s_and_saveexec_b64 s[40:41], vcc
	s_cbranch_execz .LBB14_23
.LBB14_29:                              ;   in Loop: Header=BB14_24 Depth=2
	v_lshl_add_u64 v[10:11], v[10:11], 0, 32
	v_cmp_ge_i64_e32 vcc, v[10:11], v[2:3]
	v_lshl_add_u64 v[0:1], v[0:1], 0, s[24:25]
	v_lshl_add_u64 v[16:17], v[16:17], 0, s[26:27]
	s_orn2_b64 s[0:1], vcc, exec
	s_branch .LBB14_23
.LBB14_30:                              ;   in Loop: Header=BB14_21 Depth=1
	s_or_b64 exec, exec, s[38:39]
.LBB14_31:                              ;   in Loop: Header=BB14_21 Depth=1
	s_or_b64 exec, exec, s[30:31]
	v_cmp_lt_i64_e32 vcc, v[12:13], v[4:5]
	s_waitcnt lgkmcnt(0)
	s_and_saveexec_b64 s[30:31], vcc
	s_cbranch_execz .LBB14_41
; %bb.32:                               ;   in Loop: Header=BB14_21 Depth=1
	v_lshl_add_u64 v[0:1], v[12:13], 2, s[4:5]
	v_lshl_add_u64 v[16:17], v[12:13], 3, s[6:7]
	s_mov_b64 s[38:39], 0
	s_branch .LBB14_34
.LBB14_33:                              ;   in Loop: Header=BB14_34 Depth=2
	s_or_b64 exec, exec, s[40:41]
	s_and_b64 s[0:1], exec, s[0:1]
	s_or_b64 s[38:39], s[0:1], s[38:39]
	s_andn2_b64 exec, exec, s[38:39]
	s_cbranch_execz .LBB14_40
.LBB14_34:                              ;   Parent Loop BB14_21 Depth=1
                                        ; =>  This Inner Loop Header: Depth=2
	global_load_dword v8, v[0:1], off
	s_waitcnt vmcnt(0)
	v_subrev_u32_e32 v30, s29, v8
	v_sub_u32_e32 v8, v30, v14
	v_cmp_gt_u32_e32 vcc, 32, v8
	v_cmp_lt_u32_e64 s[0:1], 31, v8
	s_and_saveexec_b64 s[40:41], s[0:1]
	s_xor_b64 s[0:1], exec, s[40:41]
	s_cbranch_execnz .LBB14_37
; %bb.35:                               ;   in Loop: Header=BB14_34 Depth=2
	s_andn2_saveexec_b64 s[0:1], s[0:1]
	s_cbranch_execnz .LBB14_38
.LBB14_36:                              ;   in Loop: Header=BB14_34 Depth=2
	s_or_b64 exec, exec, s[0:1]
	s_mov_b64 s[0:1], -1
	s_and_saveexec_b64 s[40:41], vcc
	s_cbranch_execz .LBB14_33
	s_branch .LBB14_39
.LBB14_37:                              ;   in Loop: Header=BB14_34 Depth=2
	v_min_i32_e32 v15, v30, v15
                                        ; implicit-def: $vgpr8
	s_andn2_saveexec_b64 s[0:1], s[0:1]
	s_cbranch_execz .LBB14_36
.LBB14_38:                              ;   in Loop: Header=BB14_34 Depth=2
	global_load_dwordx2 v[34:35], v[16:17], off offset:-4
	v_lshl_add_u32 v30, v8, 3, v19
	ds_read_b64 v[36:37], v30
	v_add_u32_e32 v8, v18, v8
	ds_write_b8 v8, v29
	s_waitcnt vmcnt(0) lgkmcnt(1)
	v_pk_fma_f32 v[36:37], s[16:17], v[34:35], v[36:37] op_sel_hi:[1,0,1]
	s_nop 0
	v_pk_fma_f32 v[34:35], s[12:13], v[34:35], v[36:37] op_sel:[0,1,0]
	ds_write_b64 v30, v[34:35]
	s_or_b64 exec, exec, s[0:1]
	s_mov_b64 s[0:1], -1
	s_and_saveexec_b64 s[40:41], vcc
	s_cbranch_execz .LBB14_33
.LBB14_39:                              ;   in Loop: Header=BB14_34 Depth=2
	v_lshl_add_u64 v[12:13], v[12:13], 0, 32
	v_cmp_ge_i64_e32 vcc, v[12:13], v[4:5]
	v_lshl_add_u64 v[0:1], v[0:1], 0, s[24:25]
	v_lshl_add_u64 v[16:17], v[16:17], 0, s[26:27]
	s_orn2_b64 s[0:1], vcc, exec
	s_branch .LBB14_33
.LBB14_40:                              ;   in Loop: Header=BB14_21 Depth=1
	s_or_b64 exec, exec, s[38:39]
.LBB14_41:                              ;   in Loop: Header=BB14_21 Depth=1
	s_or_b64 exec, exec, s[30:31]
	s_waitcnt lgkmcnt(0)
	ds_read_u8 v0, v28
	s_waitcnt lgkmcnt(0)
	v_and_b32_e32 v1, 1, v0
	v_cmp_eq_u32_e64 s[0:1], 1, v1
	v_cmp_ne_u16_e32 vcc, 0, v0
	s_and_saveexec_b64 s[30:31], s[0:1]
	s_cbranch_execz .LBB14_20
; %bb.42:                               ;   in Loop: Header=BB14_21 Depth=1
	v_and_b32_e32 v0, vcc_lo, v21
	v_bcnt_u32_b32 v8, v0, 0
	ds_read_b64 v[0:1], v20
	v_lshl_add_u64 v[16:17], v[6:7], 0, v[8:9]
	v_add_u32_e32 v14, v22, v14
	v_lshl_add_u64 v[34:35], v[16:17], 2, s[10:11]
	v_lshl_add_u64 v[16:17], v[16:17], 3, s[34:35]
	global_store_dword v[34:35], v14, off offset:-4
	s_waitcnt lgkmcnt(0)
	global_store_dwordx2 v[16:17], v[0:1], off offset:-8
	s_branch .LBB14_20
.LBB14_43:
	s_endpgm
	.section	.rodata,"a",@progbits
	.p2align	6, 0x0
	.amdhsa_kernel _ZN9rocsparseL29csrgeam_fill_multipass_kernelILj256ELj32Eli21rocsparse_complex_numIfEEEvllNS_24const_host_device_scalarIT3_EEPKT1_PKT2_PKS4_S5_S8_SB_SD_S8_PS9_PS4_21rocsparse_index_base_SG_SG_bbb
		.amdhsa_group_segment_fixed_size 2304
		.amdhsa_private_segment_fixed_size 0
		.amdhsa_kernarg_size 120
		.amdhsa_user_sgpr_count 2
		.amdhsa_user_sgpr_dispatch_ptr 0
		.amdhsa_user_sgpr_queue_ptr 0
		.amdhsa_user_sgpr_kernarg_segment_ptr 1
		.amdhsa_user_sgpr_dispatch_id 0
		.amdhsa_user_sgpr_kernarg_preload_length 0
		.amdhsa_user_sgpr_kernarg_preload_offset 0
		.amdhsa_user_sgpr_private_segment_size 0
		.amdhsa_uses_dynamic_stack 0
		.amdhsa_enable_private_segment 0
		.amdhsa_system_sgpr_workgroup_id_x 1
		.amdhsa_system_sgpr_workgroup_id_y 0
		.amdhsa_system_sgpr_workgroup_id_z 0
		.amdhsa_system_sgpr_workgroup_info 0
		.amdhsa_system_vgpr_workitem_id 0
		.amdhsa_next_free_vgpr 38
		.amdhsa_next_free_sgpr 42
		.amdhsa_accum_offset 40
		.amdhsa_reserve_vcc 1
		.amdhsa_float_round_mode_32 0
		.amdhsa_float_round_mode_16_64 0
		.amdhsa_float_denorm_mode_32 3
		.amdhsa_float_denorm_mode_16_64 3
		.amdhsa_dx10_clamp 1
		.amdhsa_ieee_mode 1
		.amdhsa_fp16_overflow 0
		.amdhsa_tg_split 0
		.amdhsa_exception_fp_ieee_invalid_op 0
		.amdhsa_exception_fp_denorm_src 0
		.amdhsa_exception_fp_ieee_div_zero 0
		.amdhsa_exception_fp_ieee_overflow 0
		.amdhsa_exception_fp_ieee_underflow 0
		.amdhsa_exception_fp_ieee_inexact 0
		.amdhsa_exception_int_div_zero 0
	.end_amdhsa_kernel
	.section	.text._ZN9rocsparseL29csrgeam_fill_multipass_kernelILj256ELj32Eli21rocsparse_complex_numIfEEEvllNS_24const_host_device_scalarIT3_EEPKT1_PKT2_PKS4_S5_S8_SB_SD_S8_PS9_PS4_21rocsparse_index_base_SG_SG_bbb,"axG",@progbits,_ZN9rocsparseL29csrgeam_fill_multipass_kernelILj256ELj32Eli21rocsparse_complex_numIfEEEvllNS_24const_host_device_scalarIT3_EEPKT1_PKT2_PKS4_S5_S8_SB_SD_S8_PS9_PS4_21rocsparse_index_base_SG_SG_bbb,comdat
.Lfunc_end14:
	.size	_ZN9rocsparseL29csrgeam_fill_multipass_kernelILj256ELj32Eli21rocsparse_complex_numIfEEEvllNS_24const_host_device_scalarIT3_EEPKT1_PKT2_PKS4_S5_S8_SB_SD_S8_PS9_PS4_21rocsparse_index_base_SG_SG_bbb, .Lfunc_end14-_ZN9rocsparseL29csrgeam_fill_multipass_kernelILj256ELj32Eli21rocsparse_complex_numIfEEEvllNS_24const_host_device_scalarIT3_EEPKT1_PKT2_PKS4_S5_S8_SB_SD_S8_PS9_PS4_21rocsparse_index_base_SG_SG_bbb
                                        ; -- End function
	.set _ZN9rocsparseL29csrgeam_fill_multipass_kernelILj256ELj32Eli21rocsparse_complex_numIfEEEvllNS_24const_host_device_scalarIT3_EEPKT1_PKT2_PKS4_S5_S8_SB_SD_S8_PS9_PS4_21rocsparse_index_base_SG_SG_bbb.num_vgpr, 38
	.set _ZN9rocsparseL29csrgeam_fill_multipass_kernelILj256ELj32Eli21rocsparse_complex_numIfEEEvllNS_24const_host_device_scalarIT3_EEPKT1_PKT2_PKS4_S5_S8_SB_SD_S8_PS9_PS4_21rocsparse_index_base_SG_SG_bbb.num_agpr, 0
	.set _ZN9rocsparseL29csrgeam_fill_multipass_kernelILj256ELj32Eli21rocsparse_complex_numIfEEEvllNS_24const_host_device_scalarIT3_EEPKT1_PKT2_PKS4_S5_S8_SB_SD_S8_PS9_PS4_21rocsparse_index_base_SG_SG_bbb.numbered_sgpr, 42
	.set _ZN9rocsparseL29csrgeam_fill_multipass_kernelILj256ELj32Eli21rocsparse_complex_numIfEEEvllNS_24const_host_device_scalarIT3_EEPKT1_PKT2_PKS4_S5_S8_SB_SD_S8_PS9_PS4_21rocsparse_index_base_SG_SG_bbb.num_named_barrier, 0
	.set _ZN9rocsparseL29csrgeam_fill_multipass_kernelILj256ELj32Eli21rocsparse_complex_numIfEEEvllNS_24const_host_device_scalarIT3_EEPKT1_PKT2_PKS4_S5_S8_SB_SD_S8_PS9_PS4_21rocsparse_index_base_SG_SG_bbb.private_seg_size, 0
	.set _ZN9rocsparseL29csrgeam_fill_multipass_kernelILj256ELj32Eli21rocsparse_complex_numIfEEEvllNS_24const_host_device_scalarIT3_EEPKT1_PKT2_PKS4_S5_S8_SB_SD_S8_PS9_PS4_21rocsparse_index_base_SG_SG_bbb.uses_vcc, 1
	.set _ZN9rocsparseL29csrgeam_fill_multipass_kernelILj256ELj32Eli21rocsparse_complex_numIfEEEvllNS_24const_host_device_scalarIT3_EEPKT1_PKT2_PKS4_S5_S8_SB_SD_S8_PS9_PS4_21rocsparse_index_base_SG_SG_bbb.uses_flat_scratch, 0
	.set _ZN9rocsparseL29csrgeam_fill_multipass_kernelILj256ELj32Eli21rocsparse_complex_numIfEEEvllNS_24const_host_device_scalarIT3_EEPKT1_PKT2_PKS4_S5_S8_SB_SD_S8_PS9_PS4_21rocsparse_index_base_SG_SG_bbb.has_dyn_sized_stack, 0
	.set _ZN9rocsparseL29csrgeam_fill_multipass_kernelILj256ELj32Eli21rocsparse_complex_numIfEEEvllNS_24const_host_device_scalarIT3_EEPKT1_PKT2_PKS4_S5_S8_SB_SD_S8_PS9_PS4_21rocsparse_index_base_SG_SG_bbb.has_recursion, 0
	.set _ZN9rocsparseL29csrgeam_fill_multipass_kernelILj256ELj32Eli21rocsparse_complex_numIfEEEvllNS_24const_host_device_scalarIT3_EEPKT1_PKT2_PKS4_S5_S8_SB_SD_S8_PS9_PS4_21rocsparse_index_base_SG_SG_bbb.has_indirect_call, 0
	.section	.AMDGPU.csdata,"",@progbits
; Kernel info:
; codeLenInByte = 1520
; TotalNumSgprs: 48
; NumVgprs: 38
; NumAgprs: 0
; TotalNumVgprs: 38
; ScratchSize: 0
; MemoryBound: 0
; FloatMode: 240
; IeeeMode: 1
; LDSByteSize: 2304 bytes/workgroup (compile time only)
; SGPRBlocks: 5
; VGPRBlocks: 4
; NumSGPRsForWavesPerEU: 48
; NumVGPRsForWavesPerEU: 38
; AccumOffset: 40
; Occupancy: 8
; WaveLimiterHint : 1
; COMPUTE_PGM_RSRC2:SCRATCH_EN: 0
; COMPUTE_PGM_RSRC2:USER_SGPR: 2
; COMPUTE_PGM_RSRC2:TRAP_HANDLER: 0
; COMPUTE_PGM_RSRC2:TGID_X_EN: 1
; COMPUTE_PGM_RSRC2:TGID_Y_EN: 0
; COMPUTE_PGM_RSRC2:TGID_Z_EN: 0
; COMPUTE_PGM_RSRC2:TIDIG_COMP_CNT: 0
; COMPUTE_PGM_RSRC3_GFX90A:ACCUM_OFFSET: 9
; COMPUTE_PGM_RSRC3_GFX90A:TG_SPLIT: 0
	.section	.text._ZN9rocsparseL29csrgeam_fill_multipass_kernelILj256ELj64Eli21rocsparse_complex_numIfEEEvllNS_24const_host_device_scalarIT3_EEPKT1_PKT2_PKS4_S5_S8_SB_SD_S8_PS9_PS4_21rocsparse_index_base_SG_SG_bbb,"axG",@progbits,_ZN9rocsparseL29csrgeam_fill_multipass_kernelILj256ELj64Eli21rocsparse_complex_numIfEEEvllNS_24const_host_device_scalarIT3_EEPKT1_PKT2_PKS4_S5_S8_SB_SD_S8_PS9_PS4_21rocsparse_index_base_SG_SG_bbb,comdat
	.globl	_ZN9rocsparseL29csrgeam_fill_multipass_kernelILj256ELj64Eli21rocsparse_complex_numIfEEEvllNS_24const_host_device_scalarIT3_EEPKT1_PKT2_PKS4_S5_S8_SB_SD_S8_PS9_PS4_21rocsparse_index_base_SG_SG_bbb ; -- Begin function _ZN9rocsparseL29csrgeam_fill_multipass_kernelILj256ELj64Eli21rocsparse_complex_numIfEEEvllNS_24const_host_device_scalarIT3_EEPKT1_PKT2_PKS4_S5_S8_SB_SD_S8_PS9_PS4_21rocsparse_index_base_SG_SG_bbb
	.p2align	8
	.type	_ZN9rocsparseL29csrgeam_fill_multipass_kernelILj256ELj64Eli21rocsparse_complex_numIfEEEvllNS_24const_host_device_scalarIT3_EEPKT1_PKT2_PKS4_S5_S8_SB_SD_S8_PS9_PS4_21rocsparse_index_base_SG_SG_bbb,@function
_ZN9rocsparseL29csrgeam_fill_multipass_kernelILj256ELj64Eli21rocsparse_complex_numIfEEEvllNS_24const_host_device_scalarIT3_EEPKT1_PKT2_PKS4_S5_S8_SB_SD_S8_PS9_PS4_21rocsparse_index_base_SG_SG_bbb: ; @_ZN9rocsparseL29csrgeam_fill_multipass_kernelILj256ELj64Eli21rocsparse_complex_numIfEEEvllNS_24const_host_device_scalarIT3_EEPKT1_PKT2_PKS4_S5_S8_SB_SD_S8_PS9_PS4_21rocsparse_index_base_SG_SG_bbb
; %bb.0:
	s_load_dwordx8 s[4:11], s[0:1], 0x40
	s_load_dword s3, s[0:1], 0x74
	s_load_dwordx8 s[12:19], s[0:1], 0x0
	s_load_dwordx8 s[20:27], s[0:1], 0x20
	s_load_dwordx2 s[34:35], s[0:1], 0x60
	s_load_dwordx4 s[28:31], s[0:1], 0x68
	s_waitcnt lgkmcnt(0)
	s_bitcmp1_b32 s3, 16
	s_cselect_b64 s[0:1], -1, 0
	s_xor_b64 s[0:1], s[0:1], -1
	s_mov_b32 s37, 0
	v_cndmask_b32_e64 v1, 0, 1, s[0:1]
	s_bitcmp0_b32 s31, 0
	v_cmp_ne_u32_e64 s[0:1], 1, v1
	s_mov_b32 s36, s37
	s_cbranch_scc1 .LBB15_6
; %bb.1:
	s_and_b64 vcc, exec, s[0:1]
	s_mov_b32 s36, s16
	s_cbranch_vccnz .LBB15_3
; %bb.2:
	s_load_dword s36, s[16:17], 0x0
.LBB15_3:
	s_and_b64 vcc, exec, s[0:1]
	s_cbranch_vccnz .LBB15_5
; %bb.4:
	s_load_dword s17, s[16:17], 0x4
.LBB15_5:
	s_waitcnt lgkmcnt(0)
	s_mov_b32 s37, s17
.LBB15_6:
	s_mov_b32 s16, 0
	s_bfe_u32 s3, s3, 0x10008
	s_cmp_eq_u32 s3, 0
	s_mov_b32 s17, s16
	s_cbranch_scc1 .LBB15_12
; %bb.7:
	s_and_b64 vcc, exec, s[0:1]
	s_mov_b32 s16, s24
	s_cbranch_vccnz .LBB15_9
; %bb.8:
	s_load_dword s16, s[24:25], 0x0
.LBB15_9:
	s_and_b64 vcc, exec, s[0:1]
	s_cbranch_vccnz .LBB15_11
; %bb.10:
	s_load_dword s25, s[24:25], 0x4
.LBB15_11:
	s_waitcnt lgkmcnt(0)
	s_mov_b32 s17, s25
.LBB15_12:
	s_lshl_b32 s0, s2, 2
	v_lshrrev_b32_e32 v1, 6, v0
	s_and_b32 s0, s0, 0x3fffffc
	v_or_b32_e32 v2, s0, v1
	v_mov_b32_e32 v3, 0
	v_cmp_gt_i64_e32 vcc, s[12:13], v[2:3]
	s_and_saveexec_b64 s[0:1], vcc
	s_cbranch_execz .LBB15_43
; %bb.13:
	v_lshlrev_b32_e32 v1, 3, v2
	global_load_dwordx4 v[2:5], v1, s[18:19]
	global_load_dwordx4 v[6:9], v1, s[26:27]
	global_load_dwordx2 v[12:13], v1, s[8:9]
	s_waitcnt vmcnt(2)
	v_subrev_co_u32_e32 v10, vcc, s28, v2
	s_nop 1
	v_subbrev_co_u32_e32 v11, vcc, 0, v3, vcc
	v_cmp_ge_i64_e32 vcc, v[2:3], v[4:5]
	s_and_saveexec_b64 s[0:1], vcc
	s_xor_b64 s[0:1], exec, s[0:1]
	s_or_saveexec_b64 s[0:1], s[0:1]
	v_mov_b32_e32 v1, s14
	s_xor_b64 exec, exec, s[0:1]
	s_cbranch_execz .LBB15_15
; %bb.14:
	v_lshl_add_u64 v[2:3], v[10:11], 2, s[20:21]
	global_load_dword v1, v[2:3], off
	s_waitcnt vmcnt(0)
	v_subrev_u32_e32 v1, s28, v1
.LBB15_15:
	s_or_b64 exec, exec, s[0:1]
	s_waitcnt vmcnt(1)
	v_subrev_co_u32_e32 v16, vcc, s29, v6
	s_mov_b32 s2, s29
	s_nop 0
	v_subbrev_co_u32_e32 v17, vcc, 0, v7, vcc
	v_cmp_ge_i64_e32 vcc, v[6:7], v[8:9]
	v_mov_b32_e32 v33, s14
	s_and_saveexec_b64 s[0:1], vcc
	s_xor_b64 s[0:1], exec, s[0:1]
; %bb.16:
	v_mov_b32_e32 v33, s14
; %bb.17:
	s_or_saveexec_b64 s[0:1], s[0:1]
	v_mov_b32_e32 v14, v33
	s_xor_b64 exec, exec, s[0:1]
	s_cbranch_execz .LBB15_19
; %bb.18:
	v_lshl_add_u64 v[2:3], v[16:17], 2, s[4:5]
	global_load_dword v2, v[2:3], off
	s_waitcnt vmcnt(0)
	v_subrev_u32_e32 v14, s29, v2
.LBB15_19:
	s_or_b64 exec, exec, s[0:1]
	v_and_b32_e32 v2, 0xc0, v0
	v_or_b32_e32 v20, 0x800, v2
	v_lshlrev_b32_e32 v21, 3, v2
	v_subrev_co_u32_e32 v2, vcc, s28, v4
	v_min_i32_e32 v14, v14, v1
	s_nop 0
	v_subbrev_co_u32_e32 v3, vcc, 0, v5, vcc
	v_subrev_co_u32_e32 v4, vcc, s2, v8
	v_mbcnt_lo_u32_b32 v1, -1, 0
	s_nop 0
	v_subbrev_co_u32_e32 v5, vcc, 0, v9, vcc
	v_mbcnt_hi_u32_b32 v15, -1, v1
	s_waitcnt vmcnt(0)
	v_subrev_co_u32_e32 v6, vcc, s30, v12
	v_and_b32_e32 v8, 63, v0
	v_mov_b32_e32 v9, 0
	v_and_b32_e32 v1, 64, v15
	v_subbrev_co_u32_e32 v7, vcc, 0, v13, vcc
	v_lshl_add_u64 v[12:13], v[16:17], 0, v[8:9]
	v_add_u32_e32 v16, 64, v1
	v_xor_b32_e32 v17, 32, v15
	v_cmp_lt_i32_e32 vcc, v17, v16
	s_xor_b32 s8, s37, 0x80000000
	s_xor_b32 s12, s17, 0x80000000
	v_cndmask_b32_e32 v17, v15, v17, vcc
	v_lshlrev_b32_e32 v24, 2, v17
	v_xor_b32_e32 v17, 16, v15
	v_cmp_lt_i32_e32 vcc, v17, v16
	s_add_u32 s18, s22, 4
	s_addc_u32 s19, s23, 0
	v_cndmask_b32_e32 v17, v15, v17, vcc
	v_lshlrev_b32_e32 v25, 2, v17
	v_xor_b32_e32 v17, 8, v15
	v_cmp_lt_i32_e32 vcc, v17, v16
	v_bitop3_b32 v0, v0, 63, v0 bitop3:0xc
	s_add_u32 s6, s6, 4
	v_cndmask_b32_e32 v17, v15, v17, vcc
	v_lshlrev_b32_e32 v26, 2, v17
	v_xor_b32_e32 v17, 4, v15
	v_cmp_lt_i32_e32 vcc, v17, v16
	s_mov_b32 s3, 0
	v_lshl_add_u64 v[10:11], v[10:11], 0, v[8:9]
	v_cndmask_b32_e32 v17, v15, v17, vcc
	v_lshlrev_b32_e32 v27, 2, v17
	v_xor_b32_e32 v17, 2, v15
	v_cmp_lt_i32_e32 vcc, v17, v16
	v_lshl_or_b32 v22, v8, 3, v21
	v_lshrrev_b64 v[0:1], v0, -1
	v_cndmask_b32_e32 v17, v15, v17, vcc
	v_lshlrev_b32_e32 v28, 2, v17
	v_xor_b32_e32 v17, 1, v15
	v_cmp_lt_i32_e32 vcc, v17, v16
	v_add_u32_e32 v23, s30, v8
	s_mov_b32 s9, s36
	v_cndmask_b32_e32 v15, v15, v17, vcc
	v_lshlrev_b32_e32 v29, 2, v15
	s_mov_b32 s13, s16
	s_addc_u32 s7, s7, 0
	s_mov_b64 s[22:23], 0
	v_add_u32_e32 v30, v20, v8
	v_mov_b32_e32 v34, v9
	v_mov_b32_e32 v35, v9
	;; [unrolled: 1-line block ×3, first 2 shown]
	s_mov_b64 s[24:25], 0x100
	s_mov_b64 s[26:27], 0x200
	s_branch .LBB15_21
.LBB15_20:                              ;   in Loop: Header=BB15_21 Depth=1
	s_or_b64 exec, exec, s[30:31]
	ds_bpermute_b32 v8, v24, v15
	s_bcnt1_i32_b64 s2, vcc
	v_lshl_add_u64 v[6:7], s[2:3], 0, v[6:7]
	s_waitcnt lgkmcnt(0)
	v_min_i32_e32 v8, v8, v15
	ds_bpermute_b32 v14, v25, v8
	s_waitcnt lgkmcnt(0)
	v_min_i32_e32 v8, v14, v8
	ds_bpermute_b32 v14, v26, v8
	;; [unrolled: 3-line block ×5, first 2 shown]
	s_waitcnt lgkmcnt(0)
	v_min_i32_e32 v14, v14, v8
	v_ashrrev_i32_e32 v15, 31, v14
	v_cmp_le_i64_e32 vcc, s[14:15], v[14:15]
	s_or_b64 s[22:23], vcc, s[22:23]
	s_andn2_b64 exec, exec, s[22:23]
	s_cbranch_execz .LBB15_43
.LBB15_21:                              ; =>This Loop Header: Depth=1
                                        ;     Child Loop BB15_24 Depth 2
                                        ;     Child Loop BB15_34 Depth 2
	v_cmp_lt_i64_e32 vcc, v[10:11], v[2:3]
	v_mov_b32_e32 v15, v33
	ds_write_b8 v30, v9
	ds_write_b64 v22, v[34:35]
	s_waitcnt lgkmcnt(0)
	s_and_saveexec_b64 s[30:31], vcc
	s_cbranch_execz .LBB15_31
; %bb.22:                               ;   in Loop: Header=BB15_21 Depth=1
	v_lshl_add_u64 v[16:17], v[10:11], 2, s[20:21]
	v_lshl_add_u64 v[18:19], v[10:11], 3, s[18:19]
	s_mov_b64 s[38:39], 0
	v_mov_b32_e32 v15, v33
	s_branch .LBB15_24
.LBB15_23:                              ;   in Loop: Header=BB15_24 Depth=2
	s_or_b64 exec, exec, s[40:41]
	s_and_b64 s[0:1], exec, s[0:1]
	s_or_b64 s[38:39], s[0:1], s[38:39]
	s_andn2_b64 exec, exec, s[38:39]
	s_cbranch_execz .LBB15_30
.LBB15_24:                              ;   Parent Loop BB15_21 Depth=1
                                        ; =>  This Inner Loop Header: Depth=2
	global_load_dword v8, v[16:17], off
	s_waitcnt vmcnt(0)
	v_subrev_u32_e32 v32, s28, v8
	v_sub_u32_e32 v8, v32, v14
	v_cmp_gt_u32_e32 vcc, 64, v8
	v_cmp_lt_u32_e64 s[0:1], 63, v8
	s_and_saveexec_b64 s[40:41], s[0:1]
	s_xor_b64 s[0:1], exec, s[40:41]
	s_cbranch_execnz .LBB15_27
; %bb.25:                               ;   in Loop: Header=BB15_24 Depth=2
	s_andn2_saveexec_b64 s[0:1], s[0:1]
	s_cbranch_execnz .LBB15_28
.LBB15_26:                              ;   in Loop: Header=BB15_24 Depth=2
	s_or_b64 exec, exec, s[0:1]
	s_mov_b64 s[0:1], -1
	s_and_saveexec_b64 s[40:41], vcc
	s_cbranch_execz .LBB15_23
	s_branch .LBB15_29
.LBB15_27:                              ;   in Loop: Header=BB15_24 Depth=2
	v_min_i32_e32 v15, v32, v15
                                        ; implicit-def: $vgpr8
	s_andn2_saveexec_b64 s[0:1], s[0:1]
	s_cbranch_execz .LBB15_26
.LBB15_28:                              ;   in Loop: Header=BB15_24 Depth=2
	global_load_dwordx2 v[36:37], v[18:19], off offset:-4
	v_add_u32_e32 v32, v20, v8
	v_lshl_add_u32 v8, v8, 3, v21
	ds_write_b8 v32, v31
	s_waitcnt vmcnt(0)
	v_pk_mul_f32 v[38:39], v[36:37], s[8:9] op_sel:[1,0]
	s_nop 0
	v_pk_fma_f32 v[36:37], s[36:37], v[36:37], v[38:39] op_sel_hi:[1,0,1]
	ds_write_b64 v8, v[36:37]
	s_or_b64 exec, exec, s[0:1]
	s_mov_b64 s[0:1], -1
	s_and_saveexec_b64 s[40:41], vcc
	s_cbranch_execz .LBB15_23
.LBB15_29:                              ;   in Loop: Header=BB15_24 Depth=2
	v_lshl_add_u64 v[10:11], v[10:11], 0, 64
	v_cmp_ge_i64_e32 vcc, v[10:11], v[2:3]
	v_lshl_add_u64 v[16:17], v[16:17], 0, s[24:25]
	v_lshl_add_u64 v[18:19], v[18:19], 0, s[26:27]
	s_orn2_b64 s[0:1], vcc, exec
	s_branch .LBB15_23
.LBB15_30:                              ;   in Loop: Header=BB15_21 Depth=1
	s_or_b64 exec, exec, s[38:39]
.LBB15_31:                              ;   in Loop: Header=BB15_21 Depth=1
	s_or_b64 exec, exec, s[30:31]
	v_cmp_lt_i64_e32 vcc, v[12:13], v[4:5]
	s_waitcnt lgkmcnt(0)
	s_and_saveexec_b64 s[30:31], vcc
	s_cbranch_execz .LBB15_41
; %bb.32:                               ;   in Loop: Header=BB15_21 Depth=1
	v_lshl_add_u64 v[16:17], v[12:13], 2, s[4:5]
	v_lshl_add_u64 v[18:19], v[12:13], 3, s[6:7]
	s_mov_b64 s[38:39], 0
	s_branch .LBB15_34
.LBB15_33:                              ;   in Loop: Header=BB15_34 Depth=2
	s_or_b64 exec, exec, s[40:41]
	s_and_b64 s[0:1], exec, s[0:1]
	s_or_b64 s[38:39], s[0:1], s[38:39]
	s_andn2_b64 exec, exec, s[38:39]
	s_cbranch_execz .LBB15_40
.LBB15_34:                              ;   Parent Loop BB15_21 Depth=1
                                        ; =>  This Inner Loop Header: Depth=2
	global_load_dword v8, v[16:17], off
	s_waitcnt vmcnt(0)
	v_subrev_u32_e32 v32, s29, v8
	v_sub_u32_e32 v8, v32, v14
	v_cmp_gt_u32_e32 vcc, 64, v8
	v_cmp_lt_u32_e64 s[0:1], 63, v8
	s_and_saveexec_b64 s[40:41], s[0:1]
	s_xor_b64 s[0:1], exec, s[40:41]
	s_cbranch_execnz .LBB15_37
; %bb.35:                               ;   in Loop: Header=BB15_34 Depth=2
	s_andn2_saveexec_b64 s[0:1], s[0:1]
	s_cbranch_execnz .LBB15_38
.LBB15_36:                              ;   in Loop: Header=BB15_34 Depth=2
	s_or_b64 exec, exec, s[0:1]
	s_mov_b64 s[0:1], -1
	s_and_saveexec_b64 s[40:41], vcc
	s_cbranch_execz .LBB15_33
	s_branch .LBB15_39
.LBB15_37:                              ;   in Loop: Header=BB15_34 Depth=2
	v_min_i32_e32 v15, v32, v15
                                        ; implicit-def: $vgpr8
	s_andn2_saveexec_b64 s[0:1], s[0:1]
	s_cbranch_execz .LBB15_36
.LBB15_38:                              ;   in Loop: Header=BB15_34 Depth=2
	global_load_dwordx2 v[36:37], v[18:19], off offset:-4
	v_lshl_add_u32 v32, v8, 3, v21
	ds_read_b64 v[38:39], v32
	v_add_u32_e32 v8, v20, v8
	ds_write_b8 v8, v31
	s_waitcnt vmcnt(0) lgkmcnt(1)
	v_pk_fma_f32 v[38:39], s[16:17], v[36:37], v[38:39] op_sel_hi:[1,0,1]
	s_nop 0
	v_pk_fma_f32 v[36:37], s[12:13], v[36:37], v[38:39] op_sel:[0,1,0]
	ds_write_b64 v32, v[36:37]
	s_or_b64 exec, exec, s[0:1]
	s_mov_b64 s[0:1], -1
	s_and_saveexec_b64 s[40:41], vcc
	s_cbranch_execz .LBB15_33
.LBB15_39:                              ;   in Loop: Header=BB15_34 Depth=2
	v_lshl_add_u64 v[12:13], v[12:13], 0, 64
	v_cmp_ge_i64_e32 vcc, v[12:13], v[4:5]
	v_lshl_add_u64 v[16:17], v[16:17], 0, s[24:25]
	v_lshl_add_u64 v[18:19], v[18:19], 0, s[26:27]
	s_orn2_b64 s[0:1], vcc, exec
	s_branch .LBB15_33
.LBB15_40:                              ;   in Loop: Header=BB15_21 Depth=1
	s_or_b64 exec, exec, s[38:39]
.LBB15_41:                              ;   in Loop: Header=BB15_21 Depth=1
	s_or_b64 exec, exec, s[30:31]
	s_waitcnt lgkmcnt(0)
	ds_read_u8 v8, v30
	s_waitcnt lgkmcnt(0)
	v_and_b32_e32 v16, 1, v8
	v_cmp_eq_u32_e64 s[0:1], 1, v16
	v_cmp_ne_u16_e32 vcc, 0, v8
	s_and_saveexec_b64 s[30:31], s[0:1]
	s_cbranch_execz .LBB15_20
; %bb.42:                               ;   in Loop: Header=BB15_21 Depth=1
	v_and_b32_e32 v16, vcc_lo, v0
	v_and_b32_e32 v8, vcc_hi, v1
	v_bcnt_u32_b32 v16, v16, 0
	v_bcnt_u32_b32 v8, v8, v16
	ds_read_b64 v[16:17], v22
	v_lshl_add_u64 v[18:19], v[6:7], 0, v[8:9]
	v_add_u32_e32 v14, v23, v14
	v_lshl_add_u64 v[36:37], v[18:19], 2, s[10:11]
	v_lshl_add_u64 v[18:19], v[18:19], 3, s[34:35]
	global_store_dword v[36:37], v14, off offset:-4
	s_waitcnt lgkmcnt(0)
	global_store_dwordx2 v[18:19], v[16:17], off offset:-8
	s_branch .LBB15_20
.LBB15_43:
	s_endpgm
	.section	.rodata,"a",@progbits
	.p2align	6, 0x0
	.amdhsa_kernel _ZN9rocsparseL29csrgeam_fill_multipass_kernelILj256ELj64Eli21rocsparse_complex_numIfEEEvllNS_24const_host_device_scalarIT3_EEPKT1_PKT2_PKS4_S5_S8_SB_SD_S8_PS9_PS4_21rocsparse_index_base_SG_SG_bbb
		.amdhsa_group_segment_fixed_size 2304
		.amdhsa_private_segment_fixed_size 0
		.amdhsa_kernarg_size 120
		.amdhsa_user_sgpr_count 2
		.amdhsa_user_sgpr_dispatch_ptr 0
		.amdhsa_user_sgpr_queue_ptr 0
		.amdhsa_user_sgpr_kernarg_segment_ptr 1
		.amdhsa_user_sgpr_dispatch_id 0
		.amdhsa_user_sgpr_kernarg_preload_length 0
		.amdhsa_user_sgpr_kernarg_preload_offset 0
		.amdhsa_user_sgpr_private_segment_size 0
		.amdhsa_uses_dynamic_stack 0
		.amdhsa_enable_private_segment 0
		.amdhsa_system_sgpr_workgroup_id_x 1
		.amdhsa_system_sgpr_workgroup_id_y 0
		.amdhsa_system_sgpr_workgroup_id_z 0
		.amdhsa_system_sgpr_workgroup_info 0
		.amdhsa_system_vgpr_workitem_id 0
		.amdhsa_next_free_vgpr 40
		.amdhsa_next_free_sgpr 42
		.amdhsa_accum_offset 40
		.amdhsa_reserve_vcc 1
		.amdhsa_float_round_mode_32 0
		.amdhsa_float_round_mode_16_64 0
		.amdhsa_float_denorm_mode_32 3
		.amdhsa_float_denorm_mode_16_64 3
		.amdhsa_dx10_clamp 1
		.amdhsa_ieee_mode 1
		.amdhsa_fp16_overflow 0
		.amdhsa_tg_split 0
		.amdhsa_exception_fp_ieee_invalid_op 0
		.amdhsa_exception_fp_denorm_src 0
		.amdhsa_exception_fp_ieee_div_zero 0
		.amdhsa_exception_fp_ieee_overflow 0
		.amdhsa_exception_fp_ieee_underflow 0
		.amdhsa_exception_fp_ieee_inexact 0
		.amdhsa_exception_int_div_zero 0
	.end_amdhsa_kernel
	.section	.text._ZN9rocsparseL29csrgeam_fill_multipass_kernelILj256ELj64Eli21rocsparse_complex_numIfEEEvllNS_24const_host_device_scalarIT3_EEPKT1_PKT2_PKS4_S5_S8_SB_SD_S8_PS9_PS4_21rocsparse_index_base_SG_SG_bbb,"axG",@progbits,_ZN9rocsparseL29csrgeam_fill_multipass_kernelILj256ELj64Eli21rocsparse_complex_numIfEEEvllNS_24const_host_device_scalarIT3_EEPKT1_PKT2_PKS4_S5_S8_SB_SD_S8_PS9_PS4_21rocsparse_index_base_SG_SG_bbb,comdat
.Lfunc_end15:
	.size	_ZN9rocsparseL29csrgeam_fill_multipass_kernelILj256ELj64Eli21rocsparse_complex_numIfEEEvllNS_24const_host_device_scalarIT3_EEPKT1_PKT2_PKS4_S5_S8_SB_SD_S8_PS9_PS4_21rocsparse_index_base_SG_SG_bbb, .Lfunc_end15-_ZN9rocsparseL29csrgeam_fill_multipass_kernelILj256ELj64Eli21rocsparse_complex_numIfEEEvllNS_24const_host_device_scalarIT3_EEPKT1_PKT2_PKS4_S5_S8_SB_SD_S8_PS9_PS4_21rocsparse_index_base_SG_SG_bbb
                                        ; -- End function
	.set _ZN9rocsparseL29csrgeam_fill_multipass_kernelILj256ELj64Eli21rocsparse_complex_numIfEEEvllNS_24const_host_device_scalarIT3_EEPKT1_PKT2_PKS4_S5_S8_SB_SD_S8_PS9_PS4_21rocsparse_index_base_SG_SG_bbb.num_vgpr, 40
	.set _ZN9rocsparseL29csrgeam_fill_multipass_kernelILj256ELj64Eli21rocsparse_complex_numIfEEEvllNS_24const_host_device_scalarIT3_EEPKT1_PKT2_PKS4_S5_S8_SB_SD_S8_PS9_PS4_21rocsparse_index_base_SG_SG_bbb.num_agpr, 0
	.set _ZN9rocsparseL29csrgeam_fill_multipass_kernelILj256ELj64Eli21rocsparse_complex_numIfEEEvllNS_24const_host_device_scalarIT3_EEPKT1_PKT2_PKS4_S5_S8_SB_SD_S8_PS9_PS4_21rocsparse_index_base_SG_SG_bbb.numbered_sgpr, 42
	.set _ZN9rocsparseL29csrgeam_fill_multipass_kernelILj256ELj64Eli21rocsparse_complex_numIfEEEvllNS_24const_host_device_scalarIT3_EEPKT1_PKT2_PKS4_S5_S8_SB_SD_S8_PS9_PS4_21rocsparse_index_base_SG_SG_bbb.num_named_barrier, 0
	.set _ZN9rocsparseL29csrgeam_fill_multipass_kernelILj256ELj64Eli21rocsparse_complex_numIfEEEvllNS_24const_host_device_scalarIT3_EEPKT1_PKT2_PKS4_S5_S8_SB_SD_S8_PS9_PS4_21rocsparse_index_base_SG_SG_bbb.private_seg_size, 0
	.set _ZN9rocsparseL29csrgeam_fill_multipass_kernelILj256ELj64Eli21rocsparse_complex_numIfEEEvllNS_24const_host_device_scalarIT3_EEPKT1_PKT2_PKS4_S5_S8_SB_SD_S8_PS9_PS4_21rocsparse_index_base_SG_SG_bbb.uses_vcc, 1
	.set _ZN9rocsparseL29csrgeam_fill_multipass_kernelILj256ELj64Eli21rocsparse_complex_numIfEEEvllNS_24const_host_device_scalarIT3_EEPKT1_PKT2_PKS4_S5_S8_SB_SD_S8_PS9_PS4_21rocsparse_index_base_SG_SG_bbb.uses_flat_scratch, 0
	.set _ZN9rocsparseL29csrgeam_fill_multipass_kernelILj256ELj64Eli21rocsparse_complex_numIfEEEvllNS_24const_host_device_scalarIT3_EEPKT1_PKT2_PKS4_S5_S8_SB_SD_S8_PS9_PS4_21rocsparse_index_base_SG_SG_bbb.has_dyn_sized_stack, 0
	.set _ZN9rocsparseL29csrgeam_fill_multipass_kernelILj256ELj64Eli21rocsparse_complex_numIfEEEvllNS_24const_host_device_scalarIT3_EEPKT1_PKT2_PKS4_S5_S8_SB_SD_S8_PS9_PS4_21rocsparse_index_base_SG_SG_bbb.has_recursion, 0
	.set _ZN9rocsparseL29csrgeam_fill_multipass_kernelILj256ELj64Eli21rocsparse_complex_numIfEEEvllNS_24const_host_device_scalarIT3_EEPKT1_PKT2_PKS4_S5_S8_SB_SD_S8_PS9_PS4_21rocsparse_index_base_SG_SG_bbb.has_indirect_call, 0
	.section	.AMDGPU.csdata,"",@progbits
; Kernel info:
; codeLenInByte = 1564
; TotalNumSgprs: 48
; NumVgprs: 40
; NumAgprs: 0
; TotalNumVgprs: 40
; ScratchSize: 0
; MemoryBound: 0
; FloatMode: 240
; IeeeMode: 1
; LDSByteSize: 2304 bytes/workgroup (compile time only)
; SGPRBlocks: 5
; VGPRBlocks: 4
; NumSGPRsForWavesPerEU: 48
; NumVGPRsForWavesPerEU: 40
; AccumOffset: 40
; Occupancy: 8
; WaveLimiterHint : 1
; COMPUTE_PGM_RSRC2:SCRATCH_EN: 0
; COMPUTE_PGM_RSRC2:USER_SGPR: 2
; COMPUTE_PGM_RSRC2:TRAP_HANDLER: 0
; COMPUTE_PGM_RSRC2:TGID_X_EN: 1
; COMPUTE_PGM_RSRC2:TGID_Y_EN: 0
; COMPUTE_PGM_RSRC2:TGID_Z_EN: 0
; COMPUTE_PGM_RSRC2:TIDIG_COMP_CNT: 0
; COMPUTE_PGM_RSRC3_GFX90A:ACCUM_OFFSET: 9
; COMPUTE_PGM_RSRC3_GFX90A:TG_SPLIT: 0
	.section	.text._ZN9rocsparseL29csrgeam_fill_multipass_kernelILj256ELj32Ell21rocsparse_complex_numIfEEEvllNS_24const_host_device_scalarIT3_EEPKT1_PKT2_PKS4_S5_S8_SB_SD_S8_PS9_PS4_21rocsparse_index_base_SG_SG_bbb,"axG",@progbits,_ZN9rocsparseL29csrgeam_fill_multipass_kernelILj256ELj32Ell21rocsparse_complex_numIfEEEvllNS_24const_host_device_scalarIT3_EEPKT1_PKT2_PKS4_S5_S8_SB_SD_S8_PS9_PS4_21rocsparse_index_base_SG_SG_bbb,comdat
	.globl	_ZN9rocsparseL29csrgeam_fill_multipass_kernelILj256ELj32Ell21rocsparse_complex_numIfEEEvllNS_24const_host_device_scalarIT3_EEPKT1_PKT2_PKS4_S5_S8_SB_SD_S8_PS9_PS4_21rocsparse_index_base_SG_SG_bbb ; -- Begin function _ZN9rocsparseL29csrgeam_fill_multipass_kernelILj256ELj32Ell21rocsparse_complex_numIfEEEvllNS_24const_host_device_scalarIT3_EEPKT1_PKT2_PKS4_S5_S8_SB_SD_S8_PS9_PS4_21rocsparse_index_base_SG_SG_bbb
	.p2align	8
	.type	_ZN9rocsparseL29csrgeam_fill_multipass_kernelILj256ELj32Ell21rocsparse_complex_numIfEEEvllNS_24const_host_device_scalarIT3_EEPKT1_PKT2_PKS4_S5_S8_SB_SD_S8_PS9_PS4_21rocsparse_index_base_SG_SG_bbb,@function
_ZN9rocsparseL29csrgeam_fill_multipass_kernelILj256ELj32Ell21rocsparse_complex_numIfEEEvllNS_24const_host_device_scalarIT3_EEPKT1_PKT2_PKS4_S5_S8_SB_SD_S8_PS9_PS4_21rocsparse_index_base_SG_SG_bbb: ; @_ZN9rocsparseL29csrgeam_fill_multipass_kernelILj256ELj32Ell21rocsparse_complex_numIfEEEvllNS_24const_host_device_scalarIT3_EEPKT1_PKT2_PKS4_S5_S8_SB_SD_S8_PS9_PS4_21rocsparse_index_base_SG_SG_bbb
; %bb.0:
	s_load_dwordx4 s[24:27], s[0:1], 0x68
	s_load_dword s3, s[0:1], 0x74
	s_load_dwordx2 s[34:35], s[0:1], 0x50
	s_load_dwordx4 s[28:31], s[0:1], 0x40
	s_load_dwordx8 s[8:15], s[0:1], 0x0
	s_load_dwordx8 s[16:23], s[0:1], 0x20
	s_waitcnt lgkmcnt(0)
	s_bitcmp1_b32 s3, 16
	s_cselect_b64 s[4:5], -1, 0
	s_xor_b64 s[4:5], s[4:5], -1
	s_mov_b32 s7, 0
	v_cndmask_b32_e64 v1, 0, 1, s[4:5]
	s_bitcmp0_b32 s27, 0
	v_cmp_ne_u32_e64 s[4:5], 1, v1
	s_mov_b32 s6, s7
	s_cbranch_scc1 .LBB16_6
; %bb.1:
	s_and_b64 vcc, exec, s[4:5]
	s_mov_b32 s6, s12
	s_cbranch_vccnz .LBB16_3
; %bb.2:
	s_load_dword s6, s[12:13], 0x0
.LBB16_3:
	s_and_b64 vcc, exec, s[4:5]
	s_cbranch_vccnz .LBB16_5
; %bb.4:
	s_load_dword s13, s[12:13], 0x4
.LBB16_5:
	s_waitcnt lgkmcnt(0)
	s_mov_b32 s7, s13
.LBB16_6:
	s_load_dwordx4 s[36:39], s[0:1], 0x58
	s_mov_b32 s12, 0
	s_bfe_u32 s0, s3, 0x10008
	s_cmp_eq_u32 s0, 0
	s_mov_b32 s13, s12
	s_cbranch_scc1 .LBB16_12
; %bb.7:
	s_and_b64 vcc, exec, s[4:5]
	s_mov_b32 s12, s20
	s_cbranch_vccnz .LBB16_9
; %bb.8:
	s_load_dword s12, s[20:21], 0x0
.LBB16_9:
	s_and_b64 vcc, exec, s[4:5]
	s_cbranch_vccnz .LBB16_11
; %bb.10:
	s_load_dword s21, s[20:21], 0x4
.LBB16_11:
	s_waitcnt lgkmcnt(0)
	s_mov_b32 s13, s21
.LBB16_12:
	s_lshl_b32 s0, s2, 3
	v_lshrrev_b32_e32 v1, 5, v0
	s_and_b32 s0, s0, 0x7fffff8
	v_or_b32_e32 v2, s0, v1
	v_mov_b32_e32 v3, 0
	v_cmp_gt_i64_e32 vcc, s[8:9], v[2:3]
	s_and_saveexec_b64 s[0:1], vcc
	s_cbranch_execz .LBB16_41
; %bb.13:
	v_lshlrev_b32_e32 v1, 3, v2
	global_load_dwordx4 v[2:5], v1, s[14:15]
	global_load_dwordx4 v[6:9], v1, s[22:23]
	global_load_dwordx2 v[12:13], v1, s[34:35]
	v_mov_b64_e32 v[14:15], s[10:11]
	s_waitcnt vmcnt(2)
	v_subrev_co_u32_e32 v10, vcc, s24, v2
	s_nop 1
	v_subbrev_co_u32_e32 v11, vcc, 0, v3, vcc
	v_cmp_lt_i64_e32 vcc, v[2:3], v[4:5]
	s_and_saveexec_b64 s[0:1], vcc
	s_cbranch_execz .LBB16_15
; %bb.14:
	v_lshl_add_u64 v[2:3], v[10:11], 3, s[16:17]
	global_load_dwordx2 v[2:3], v[2:3], off
	s_waitcnt vmcnt(0)
	v_subrev_co_u32_e32 v14, vcc, s24, v2
	s_nop 1
	v_subbrev_co_u32_e32 v15, vcc, 0, v3, vcc
.LBB16_15:
	s_or_b64 exec, exec, s[0:1]
	s_waitcnt vmcnt(1)
	v_subrev_co_u32_e32 v16, vcc, s25, v6
	s_mov_b32 s33, s25
	s_nop 0
	v_subbrev_co_u32_e32 v17, vcc, 0, v7, vcc
	v_cmp_lt_i64_e32 vcc, v[6:7], v[8:9]
	v_mov_b64_e32 v[18:19], s[10:11]
	s_and_saveexec_b64 s[0:1], vcc
	s_cbranch_execz .LBB16_17
; %bb.16:
	v_lshl_add_u64 v[2:3], v[16:17], 3, s[28:29]
	global_load_dwordx2 v[2:3], v[2:3], off
	s_waitcnt vmcnt(0)
	v_subrev_co_u32_e32 v18, vcc, s33, v2
	s_nop 1
	v_subbrev_co_u32_e32 v19, vcc, 0, v3, vcc
.LBB16_17:
	s_or_b64 exec, exec, s[0:1]
	v_subrev_co_u32_e32 v2, vcc, s24, v4
	v_and_b32_e32 v1, 0xe0, v0
	s_nop 0
	v_subbrev_co_u32_e32 v3, vcc, 0, v5, vcc
	v_subrev_co_u32_e32 v4, vcc, s33, v8
	v_or_b32_e32 v26, 0x800, v1
	s_nop 0
	v_subbrev_co_u32_e32 v5, vcc, 0, v9, vcc
	v_lshlrev_b32_e32 v27, 3, v1
	s_waitcnt vmcnt(0)
	v_subrev_co_u32_e32 v6, vcc, s26, v12
	v_and_b32_e32 v8, 31, v0
	v_mov_b32_e32 v9, 0
	v_mbcnt_lo_u32_b32 v1, -1, 0
	v_subbrev_co_u32_e32 v7, vcc, 0, v13, vcc
	v_lshl_add_u64 v[12:13], v[16:17], 0, v[8:9]
	v_mbcnt_hi_u32_b32 v16, -1, v1
	v_cmp_lt_i64_e32 vcc, v[18:19], v[14:15]
	v_and_b32_e32 v1, 64, v16
	v_add_u32_e32 v17, 64, v1
	v_cndmask_b32_e32 v14, v14, v18, vcc
	v_xor_b32_e32 v18, 16, v16
	v_cndmask_b32_e32 v15, v15, v19, vcc
	v_cmp_lt_i32_e32 vcc, v18, v17
	s_xor_b32 s2, s7, 0x80000000
	s_xor_b32 s4, s13, 0x80000000
	v_cndmask_b32_e32 v18, v16, v18, vcc
	v_lshlrev_b32_e32 v30, 2, v18
	v_xor_b32_e32 v18, 8, v16
	v_cmp_lt_i32_e32 vcc, v18, v17
	s_add_u32 s8, s18, 4
	s_addc_u32 s9, s19, 0
	v_cndmask_b32_e32 v18, v16, v18, vcc
	v_lshlrev_b32_e32 v31, 2, v18
	v_xor_b32_e32 v18, 4, v16
	v_cmp_lt_i32_e32 vcc, v18, v17
	s_mov_b32 s27, 0
	v_bitop3_b32 v0, v0, 31, v0 bitop3:0xc
	v_cndmask_b32_e32 v18, v16, v18, vcc
	v_lshlrev_b32_e32 v32, 2, v18
	v_xor_b32_e32 v18, 2, v16
	v_cmp_lt_i32_e32 vcc, v18, v17
	s_add_u32 s14, s30, 4
	v_lshl_add_u64 v[10:11], v[10:11], 0, v[8:9]
	v_cndmask_b32_e32 v18, v16, v18, vcc
	v_lshlrev_b32_e32 v33, 2, v18
	v_xor_b32_e32 v18, 1, v16
	v_cmp_lt_i32_e32 vcc, v18, v17
	v_lshl_or_b32 v28, v8, 3, v27
	v_lshrrev_b32_e64 v29, v0, -1
	v_cndmask_b32_e32 v16, v16, v18, vcc
	v_lshl_add_u64 v[0:1], s[26:27], 0, v[8:9]
	v_lshlrev_b32_e32 v34, 2, v16
	s_mov_b32 s3, s6
	s_mov_b32 s5, s12
	s_addc_u32 s15, s31, 0
	s_mov_b64 s[18:19], 0
	v_add_u32_e32 v35, v26, v8
	v_mov_b32_e32 v38, v9
	v_mov_b32_e32 v39, v9
	;; [unrolled: 1-line block ×3, first 2 shown]
	s_mov_b64 s[20:21], 0x100
	s_branch .LBB16_19
.LBB16_18:                              ;   in Loop: Header=BB16_19 Depth=1
	s_or_b64 exec, exec, s[22:23]
	ds_bpermute_b32 v14, v30, v16
	ds_bpermute_b32 v15, v30, v17
	s_bcnt1_i32_b64 s26, vcc
	v_lshl_add_u64 v[6:7], s[26:27], 0, v[6:7]
	s_waitcnt lgkmcnt(0)
	v_cmp_lt_i64_e64 s[0:1], v[14:15], v[16:17]
	s_nop 1
	v_cndmask_b32_e64 v15, v17, v15, s[0:1]
	v_cndmask_b32_e64 v14, v16, v14, s[0:1]
	ds_bpermute_b32 v17, v31, v15
	ds_bpermute_b32 v16, v31, v14
	s_waitcnt lgkmcnt(0)
	v_cmp_lt_i64_e64 s[0:1], v[16:17], v[14:15]
	s_nop 1
	v_cndmask_b32_e64 v15, v15, v17, s[0:1]
	v_cndmask_b32_e64 v14, v14, v16, s[0:1]
	ds_bpermute_b32 v17, v32, v15
	ds_bpermute_b32 v16, v32, v14
	s_waitcnt lgkmcnt(0)
	v_cmp_lt_i64_e64 s[0:1], v[16:17], v[14:15]
	s_nop 1
	v_cndmask_b32_e64 v15, v15, v17, s[0:1]
	v_cndmask_b32_e64 v14, v14, v16, s[0:1]
	ds_bpermute_b32 v17, v33, v15
	ds_bpermute_b32 v16, v33, v14
	s_waitcnt lgkmcnt(0)
	v_cmp_lt_i64_e64 s[0:1], v[16:17], v[14:15]
	s_nop 1
	v_cndmask_b32_e64 v15, v15, v17, s[0:1]
	v_cndmask_b32_e64 v14, v14, v16, s[0:1]
	ds_bpermute_b32 v17, v34, v15
	ds_bpermute_b32 v16, v34, v14
	s_waitcnt lgkmcnt(0)
	v_cmp_lt_i64_e32 vcc, v[16:17], v[14:15]
	s_nop 1
	v_cndmask_b32_e32 v15, v15, v17, vcc
	v_cndmask_b32_e32 v14, v14, v16, vcc
	v_cmp_le_i64_e32 vcc, s[10:11], v[14:15]
	s_or_b64 s[18:19], vcc, s[18:19]
	s_andn2_b64 exec, exec, s[18:19]
	s_cbranch_execz .LBB16_41
.LBB16_19:                              ; =>This Loop Header: Depth=1
                                        ;     Child Loop BB16_22 Depth 2
                                        ;     Child Loop BB16_32 Depth 2
	v_cmp_lt_i64_e32 vcc, v[10:11], v[2:3]
	v_mov_b64_e32 v[16:17], s[10:11]
	ds_write_b8 v35, v9
	ds_write_b64 v28, v[38:39]
	s_waitcnt lgkmcnt(0)
	s_and_saveexec_b64 s[22:23], vcc
	s_cbranch_execz .LBB16_29
; %bb.20:                               ;   in Loop: Header=BB16_19 Depth=1
	v_lshlrev_b64 v[16:17], 3, v[10:11]
	v_lshl_add_u64 v[18:19], s[16:17], 0, v[16:17]
	v_lshl_add_u64 v[20:21], s[8:9], 0, v[16:17]
	s_mov_b64 s[30:31], 0
	v_mov_b64_e32 v[16:17], s[10:11]
	s_branch .LBB16_22
.LBB16_21:                              ;   in Loop: Header=BB16_22 Depth=2
	s_or_b64 exec, exec, s[34:35]
	s_and_b64 s[0:1], exec, s[0:1]
	s_or_b64 s[30:31], s[0:1], s[30:31]
	s_andn2_b64 exec, exec, s[30:31]
	s_cbranch_execz .LBB16_28
.LBB16_22:                              ;   Parent Loop BB16_19 Depth=1
                                        ; =>  This Inner Loop Header: Depth=2
	global_load_dwordx2 v[22:23], v[18:19], off
	s_waitcnt vmcnt(0)
	v_subrev_co_u32_e32 v24, vcc, s24, v22
	s_nop 1
	v_subbrev_co_u32_e32 v25, vcc, 0, v23, vcc
	v_sub_co_u32_e32 v22, vcc, v24, v14
	s_nop 1
	v_subb_co_u32_e32 v23, vcc, v25, v15, vcc
	v_cmp_gt_i64_e32 vcc, 32, v[22:23]
	v_cmp_lt_i64_e64 s[0:1], 31, v[22:23]
	s_and_saveexec_b64 s[34:35], s[0:1]
	s_xor_b64 s[34:35], exec, s[34:35]
	s_cbranch_execnz .LBB16_25
; %bb.23:                               ;   in Loop: Header=BB16_22 Depth=2
	s_andn2_saveexec_b64 s[0:1], s[34:35]
	s_cbranch_execnz .LBB16_26
.LBB16_24:                              ;   in Loop: Header=BB16_22 Depth=2
	s_or_b64 exec, exec, s[0:1]
	s_mov_b64 s[0:1], -1
	s_and_saveexec_b64 s[34:35], vcc
	s_cbranch_execz .LBB16_21
	s_branch .LBB16_27
.LBB16_25:                              ;   in Loop: Header=BB16_22 Depth=2
	v_cmp_lt_i64_e64 s[0:1], v[24:25], v[16:17]
                                        ; implicit-def: $vgpr22
	s_nop 1
	v_cndmask_b32_e64 v17, v17, v25, s[0:1]
	v_cndmask_b32_e64 v16, v16, v24, s[0:1]
	s_andn2_saveexec_b64 s[0:1], s[34:35]
	s_cbranch_execz .LBB16_24
.LBB16_26:                              ;   in Loop: Header=BB16_22 Depth=2
	global_load_dwordx2 v[24:25], v[20:21], off offset:-4
	v_add_u32_e32 v8, v26, v22
	ds_write_b8 v8, v36
	v_lshl_add_u32 v8, v22, 3, v27
	s_waitcnt vmcnt(0)
	v_pk_mul_f32 v[22:23], v[24:25], s[2:3] op_sel:[1,0]
	s_nop 0
	v_pk_fma_f32 v[22:23], s[6:7], v[24:25], v[22:23] op_sel_hi:[1,0,1]
	ds_write_b64 v8, v[22:23]
	s_or_b64 exec, exec, s[0:1]
	s_mov_b64 s[0:1], -1
	s_and_saveexec_b64 s[34:35], vcc
	s_cbranch_execz .LBB16_21
.LBB16_27:                              ;   in Loop: Header=BB16_22 Depth=2
	v_lshl_add_u64 v[10:11], v[10:11], 0, 32
	v_cmp_ge_i64_e32 vcc, v[10:11], v[2:3]
	v_lshl_add_u64 v[18:19], v[18:19], 0, s[20:21]
	v_lshl_add_u64 v[20:21], v[20:21], 0, s[20:21]
	s_orn2_b64 s[0:1], vcc, exec
	s_branch .LBB16_21
.LBB16_28:                              ;   in Loop: Header=BB16_19 Depth=1
	s_or_b64 exec, exec, s[30:31]
.LBB16_29:                              ;   in Loop: Header=BB16_19 Depth=1
	s_or_b64 exec, exec, s[22:23]
	v_cmp_lt_i64_e32 vcc, v[12:13], v[4:5]
	s_waitcnt lgkmcnt(0)
	s_and_saveexec_b64 s[22:23], vcc
	s_cbranch_execz .LBB16_39
; %bb.30:                               ;   in Loop: Header=BB16_19 Depth=1
	v_lshlrev_b64 v[20:21], 3, v[12:13]
	v_lshl_add_u64 v[18:19], s[28:29], 0, v[20:21]
	v_lshl_add_u64 v[20:21], s[14:15], 0, v[20:21]
	s_mov_b64 s[30:31], 0
	s_branch .LBB16_32
.LBB16_31:                              ;   in Loop: Header=BB16_32 Depth=2
	s_or_b64 exec, exec, s[34:35]
	s_and_b64 s[0:1], exec, s[0:1]
	s_or_b64 s[30:31], s[0:1], s[30:31]
	s_andn2_b64 exec, exec, s[30:31]
	s_cbranch_execz .LBB16_38
.LBB16_32:                              ;   Parent Loop BB16_19 Depth=1
                                        ; =>  This Inner Loop Header: Depth=2
	global_load_dwordx2 v[22:23], v[18:19], off
	s_waitcnt vmcnt(0)
	v_subrev_co_u32_e32 v24, vcc, s33, v22
	s_nop 1
	v_subbrev_co_u32_e32 v25, vcc, 0, v23, vcc
	v_sub_co_u32_e32 v22, vcc, v24, v14
	s_nop 1
	v_subb_co_u32_e32 v23, vcc, v25, v15, vcc
	v_cmp_gt_i64_e32 vcc, 32, v[22:23]
	v_cmp_lt_i64_e64 s[0:1], 31, v[22:23]
	s_and_saveexec_b64 s[34:35], s[0:1]
	s_xor_b64 s[34:35], exec, s[34:35]
	s_cbranch_execnz .LBB16_35
; %bb.33:                               ;   in Loop: Header=BB16_32 Depth=2
	s_andn2_saveexec_b64 s[0:1], s[34:35]
	s_cbranch_execnz .LBB16_36
.LBB16_34:                              ;   in Loop: Header=BB16_32 Depth=2
	s_or_b64 exec, exec, s[0:1]
	s_mov_b64 s[0:1], -1
	s_and_saveexec_b64 s[34:35], vcc
	s_cbranch_execz .LBB16_31
	s_branch .LBB16_37
.LBB16_35:                              ;   in Loop: Header=BB16_32 Depth=2
	v_cmp_lt_i64_e64 s[0:1], v[24:25], v[16:17]
                                        ; implicit-def: $vgpr22
	s_nop 1
	v_cndmask_b32_e64 v17, v17, v25, s[0:1]
	v_cndmask_b32_e64 v16, v16, v24, s[0:1]
	s_andn2_saveexec_b64 s[0:1], s[34:35]
	s_cbranch_execz .LBB16_34
.LBB16_36:                              ;   in Loop: Header=BB16_32 Depth=2
	global_load_dwordx2 v[24:25], v[20:21], off offset:-4
	v_lshl_add_u32 v8, v22, 3, v27
	ds_read_b64 v[40:41], v8
	v_add_u32_e32 v22, v26, v22
	ds_write_b8 v22, v36
	s_waitcnt vmcnt(0) lgkmcnt(1)
	v_pk_fma_f32 v[22:23], s[12:13], v[24:25], v[40:41] op_sel_hi:[1,0,1]
	s_nop 0
	v_pk_fma_f32 v[22:23], s[4:5], v[24:25], v[22:23] op_sel:[0,1,0]
	ds_write_b64 v8, v[22:23]
	s_or_b64 exec, exec, s[0:1]
	s_mov_b64 s[0:1], -1
	s_and_saveexec_b64 s[34:35], vcc
	s_cbranch_execz .LBB16_31
.LBB16_37:                              ;   in Loop: Header=BB16_32 Depth=2
	v_lshl_add_u64 v[12:13], v[12:13], 0, 32
	v_cmp_ge_i64_e32 vcc, v[12:13], v[4:5]
	v_lshl_add_u64 v[18:19], v[18:19], 0, s[20:21]
	v_lshl_add_u64 v[20:21], v[20:21], 0, s[20:21]
	s_orn2_b64 s[0:1], vcc, exec
	s_branch .LBB16_31
.LBB16_38:                              ;   in Loop: Header=BB16_19 Depth=1
	s_or_b64 exec, exec, s[30:31]
.LBB16_39:                              ;   in Loop: Header=BB16_19 Depth=1
	s_or_b64 exec, exec, s[22:23]
	s_waitcnt lgkmcnt(0)
	ds_read_u8 v8, v35
	s_waitcnt lgkmcnt(0)
	v_and_b32_e32 v18, 1, v8
	v_cmp_eq_u32_e64 s[0:1], 1, v18
	v_cmp_ne_u16_e32 vcc, 0, v8
	s_and_saveexec_b64 s[22:23], s[0:1]
	s_cbranch_execz .LBB16_18
; %bb.40:                               ;   in Loop: Header=BB16_19 Depth=1
	v_and_b32_e32 v8, vcc_lo, v29
	v_bcnt_u32_b32 v8, v8, 0
	ds_read_b64 v[20:21], v28
	v_lshl_add_u64 v[18:19], v[6:7], 0, v[8:9]
	v_lshlrev_b64 v[18:19], 3, v[18:19]
	v_lshl_add_u64 v[14:15], v[0:1], 0, v[14:15]
	v_lshl_add_u64 v[22:23], s[36:37], 0, v[18:19]
	global_store_dwordx2 v[22:23], v[14:15], off offset:-8
	v_lshl_add_u64 v[14:15], s[38:39], 0, v[18:19]
	s_waitcnt lgkmcnt(0)
	global_store_dwordx2 v[14:15], v[20:21], off offset:-8
	s_branch .LBB16_18
.LBB16_41:
	s_endpgm
	.section	.rodata,"a",@progbits
	.p2align	6, 0x0
	.amdhsa_kernel _ZN9rocsparseL29csrgeam_fill_multipass_kernelILj256ELj32Ell21rocsparse_complex_numIfEEEvllNS_24const_host_device_scalarIT3_EEPKT1_PKT2_PKS4_S5_S8_SB_SD_S8_PS9_PS4_21rocsparse_index_base_SG_SG_bbb
		.amdhsa_group_segment_fixed_size 2304
		.amdhsa_private_segment_fixed_size 0
		.amdhsa_kernarg_size 120
		.amdhsa_user_sgpr_count 2
		.amdhsa_user_sgpr_dispatch_ptr 0
		.amdhsa_user_sgpr_queue_ptr 0
		.amdhsa_user_sgpr_kernarg_segment_ptr 1
		.amdhsa_user_sgpr_dispatch_id 0
		.amdhsa_user_sgpr_kernarg_preload_length 0
		.amdhsa_user_sgpr_kernarg_preload_offset 0
		.amdhsa_user_sgpr_private_segment_size 0
		.amdhsa_uses_dynamic_stack 0
		.amdhsa_enable_private_segment 0
		.amdhsa_system_sgpr_workgroup_id_x 1
		.amdhsa_system_sgpr_workgroup_id_y 0
		.amdhsa_system_sgpr_workgroup_id_z 0
		.amdhsa_system_sgpr_workgroup_info 0
		.amdhsa_system_vgpr_workitem_id 0
		.amdhsa_next_free_vgpr 42
		.amdhsa_next_free_sgpr 40
		.amdhsa_accum_offset 44
		.amdhsa_reserve_vcc 1
		.amdhsa_float_round_mode_32 0
		.amdhsa_float_round_mode_16_64 0
		.amdhsa_float_denorm_mode_32 3
		.amdhsa_float_denorm_mode_16_64 3
		.amdhsa_dx10_clamp 1
		.amdhsa_ieee_mode 1
		.amdhsa_fp16_overflow 0
		.amdhsa_tg_split 0
		.amdhsa_exception_fp_ieee_invalid_op 0
		.amdhsa_exception_fp_denorm_src 0
		.amdhsa_exception_fp_ieee_div_zero 0
		.amdhsa_exception_fp_ieee_overflow 0
		.amdhsa_exception_fp_ieee_underflow 0
		.amdhsa_exception_fp_ieee_inexact 0
		.amdhsa_exception_int_div_zero 0
	.end_amdhsa_kernel
	.section	.text._ZN9rocsparseL29csrgeam_fill_multipass_kernelILj256ELj32Ell21rocsparse_complex_numIfEEEvllNS_24const_host_device_scalarIT3_EEPKT1_PKT2_PKS4_S5_S8_SB_SD_S8_PS9_PS4_21rocsparse_index_base_SG_SG_bbb,"axG",@progbits,_ZN9rocsparseL29csrgeam_fill_multipass_kernelILj256ELj32Ell21rocsparse_complex_numIfEEEvllNS_24const_host_device_scalarIT3_EEPKT1_PKT2_PKS4_S5_S8_SB_SD_S8_PS9_PS4_21rocsparse_index_base_SG_SG_bbb,comdat
.Lfunc_end16:
	.size	_ZN9rocsparseL29csrgeam_fill_multipass_kernelILj256ELj32Ell21rocsparse_complex_numIfEEEvllNS_24const_host_device_scalarIT3_EEPKT1_PKT2_PKS4_S5_S8_SB_SD_S8_PS9_PS4_21rocsparse_index_base_SG_SG_bbb, .Lfunc_end16-_ZN9rocsparseL29csrgeam_fill_multipass_kernelILj256ELj32Ell21rocsparse_complex_numIfEEEvllNS_24const_host_device_scalarIT3_EEPKT1_PKT2_PKS4_S5_S8_SB_SD_S8_PS9_PS4_21rocsparse_index_base_SG_SG_bbb
                                        ; -- End function
	.set _ZN9rocsparseL29csrgeam_fill_multipass_kernelILj256ELj32Ell21rocsparse_complex_numIfEEEvllNS_24const_host_device_scalarIT3_EEPKT1_PKT2_PKS4_S5_S8_SB_SD_S8_PS9_PS4_21rocsparse_index_base_SG_SG_bbb.num_vgpr, 42
	.set _ZN9rocsparseL29csrgeam_fill_multipass_kernelILj256ELj32Ell21rocsparse_complex_numIfEEEvllNS_24const_host_device_scalarIT3_EEPKT1_PKT2_PKS4_S5_S8_SB_SD_S8_PS9_PS4_21rocsparse_index_base_SG_SG_bbb.num_agpr, 0
	.set _ZN9rocsparseL29csrgeam_fill_multipass_kernelILj256ELj32Ell21rocsparse_complex_numIfEEEvllNS_24const_host_device_scalarIT3_EEPKT1_PKT2_PKS4_S5_S8_SB_SD_S8_PS9_PS4_21rocsparse_index_base_SG_SG_bbb.numbered_sgpr, 40
	.set _ZN9rocsparseL29csrgeam_fill_multipass_kernelILj256ELj32Ell21rocsparse_complex_numIfEEEvllNS_24const_host_device_scalarIT3_EEPKT1_PKT2_PKS4_S5_S8_SB_SD_S8_PS9_PS4_21rocsparse_index_base_SG_SG_bbb.num_named_barrier, 0
	.set _ZN9rocsparseL29csrgeam_fill_multipass_kernelILj256ELj32Ell21rocsparse_complex_numIfEEEvllNS_24const_host_device_scalarIT3_EEPKT1_PKT2_PKS4_S5_S8_SB_SD_S8_PS9_PS4_21rocsparse_index_base_SG_SG_bbb.private_seg_size, 0
	.set _ZN9rocsparseL29csrgeam_fill_multipass_kernelILj256ELj32Ell21rocsparse_complex_numIfEEEvllNS_24const_host_device_scalarIT3_EEPKT1_PKT2_PKS4_S5_S8_SB_SD_S8_PS9_PS4_21rocsparse_index_base_SG_SG_bbb.uses_vcc, 1
	.set _ZN9rocsparseL29csrgeam_fill_multipass_kernelILj256ELj32Ell21rocsparse_complex_numIfEEEvllNS_24const_host_device_scalarIT3_EEPKT1_PKT2_PKS4_S5_S8_SB_SD_S8_PS9_PS4_21rocsparse_index_base_SG_SG_bbb.uses_flat_scratch, 0
	.set _ZN9rocsparseL29csrgeam_fill_multipass_kernelILj256ELj32Ell21rocsparse_complex_numIfEEEvllNS_24const_host_device_scalarIT3_EEPKT1_PKT2_PKS4_S5_S8_SB_SD_S8_PS9_PS4_21rocsparse_index_base_SG_SG_bbb.has_dyn_sized_stack, 0
	.set _ZN9rocsparseL29csrgeam_fill_multipass_kernelILj256ELj32Ell21rocsparse_complex_numIfEEEvllNS_24const_host_device_scalarIT3_EEPKT1_PKT2_PKS4_S5_S8_SB_SD_S8_PS9_PS4_21rocsparse_index_base_SG_SG_bbb.has_recursion, 0
	.set _ZN9rocsparseL29csrgeam_fill_multipass_kernelILj256ELj32Ell21rocsparse_complex_numIfEEEvllNS_24const_host_device_scalarIT3_EEPKT1_PKT2_PKS4_S5_S8_SB_SD_S8_PS9_PS4_21rocsparse_index_base_SG_SG_bbb.has_indirect_call, 0
	.section	.AMDGPU.csdata,"",@progbits
; Kernel info:
; codeLenInByte = 1768
; TotalNumSgprs: 46
; NumVgprs: 42
; NumAgprs: 0
; TotalNumVgprs: 42
; ScratchSize: 0
; MemoryBound: 0
; FloatMode: 240
; IeeeMode: 1
; LDSByteSize: 2304 bytes/workgroup (compile time only)
; SGPRBlocks: 5
; VGPRBlocks: 5
; NumSGPRsForWavesPerEU: 46
; NumVGPRsForWavesPerEU: 42
; AccumOffset: 44
; Occupancy: 8
; WaveLimiterHint : 1
; COMPUTE_PGM_RSRC2:SCRATCH_EN: 0
; COMPUTE_PGM_RSRC2:USER_SGPR: 2
; COMPUTE_PGM_RSRC2:TRAP_HANDLER: 0
; COMPUTE_PGM_RSRC2:TGID_X_EN: 1
; COMPUTE_PGM_RSRC2:TGID_Y_EN: 0
; COMPUTE_PGM_RSRC2:TGID_Z_EN: 0
; COMPUTE_PGM_RSRC2:TIDIG_COMP_CNT: 0
; COMPUTE_PGM_RSRC3_GFX90A:ACCUM_OFFSET: 10
; COMPUTE_PGM_RSRC3_GFX90A:TG_SPLIT: 0
	.section	.text._ZN9rocsparseL29csrgeam_fill_multipass_kernelILj256ELj64Ell21rocsparse_complex_numIfEEEvllNS_24const_host_device_scalarIT3_EEPKT1_PKT2_PKS4_S5_S8_SB_SD_S8_PS9_PS4_21rocsparse_index_base_SG_SG_bbb,"axG",@progbits,_ZN9rocsparseL29csrgeam_fill_multipass_kernelILj256ELj64Ell21rocsparse_complex_numIfEEEvllNS_24const_host_device_scalarIT3_EEPKT1_PKT2_PKS4_S5_S8_SB_SD_S8_PS9_PS4_21rocsparse_index_base_SG_SG_bbb,comdat
	.globl	_ZN9rocsparseL29csrgeam_fill_multipass_kernelILj256ELj64Ell21rocsparse_complex_numIfEEEvllNS_24const_host_device_scalarIT3_EEPKT1_PKT2_PKS4_S5_S8_SB_SD_S8_PS9_PS4_21rocsparse_index_base_SG_SG_bbb ; -- Begin function _ZN9rocsparseL29csrgeam_fill_multipass_kernelILj256ELj64Ell21rocsparse_complex_numIfEEEvllNS_24const_host_device_scalarIT3_EEPKT1_PKT2_PKS4_S5_S8_SB_SD_S8_PS9_PS4_21rocsparse_index_base_SG_SG_bbb
	.p2align	8
	.type	_ZN9rocsparseL29csrgeam_fill_multipass_kernelILj256ELj64Ell21rocsparse_complex_numIfEEEvllNS_24const_host_device_scalarIT3_EEPKT1_PKT2_PKS4_S5_S8_SB_SD_S8_PS9_PS4_21rocsparse_index_base_SG_SG_bbb,@function
_ZN9rocsparseL29csrgeam_fill_multipass_kernelILj256ELj64Ell21rocsparse_complex_numIfEEEvllNS_24const_host_device_scalarIT3_EEPKT1_PKT2_PKS4_S5_S8_SB_SD_S8_PS9_PS4_21rocsparse_index_base_SG_SG_bbb: ; @_ZN9rocsparseL29csrgeam_fill_multipass_kernelILj256ELj64Ell21rocsparse_complex_numIfEEEvllNS_24const_host_device_scalarIT3_EEPKT1_PKT2_PKS4_S5_S8_SB_SD_S8_PS9_PS4_21rocsparse_index_base_SG_SG_bbb
; %bb.0:
	s_load_dwordx4 s[24:27], s[0:1], 0x68
	s_load_dword s3, s[0:1], 0x74
	s_load_dwordx2 s[34:35], s[0:1], 0x50
	s_load_dwordx4 s[28:31], s[0:1], 0x40
	s_load_dwordx8 s[8:15], s[0:1], 0x0
	s_load_dwordx8 s[16:23], s[0:1], 0x20
	s_waitcnt lgkmcnt(0)
	s_bitcmp1_b32 s3, 16
	s_cselect_b64 s[4:5], -1, 0
	s_xor_b64 s[4:5], s[4:5], -1
	s_mov_b32 s7, 0
	v_cndmask_b32_e64 v1, 0, 1, s[4:5]
	s_bitcmp0_b32 s27, 0
	v_cmp_ne_u32_e64 s[4:5], 1, v1
	s_mov_b32 s6, s7
	s_cbranch_scc1 .LBB17_6
; %bb.1:
	s_and_b64 vcc, exec, s[4:5]
	s_mov_b32 s6, s12
	s_cbranch_vccnz .LBB17_3
; %bb.2:
	s_load_dword s6, s[12:13], 0x0
.LBB17_3:
	s_and_b64 vcc, exec, s[4:5]
	s_cbranch_vccnz .LBB17_5
; %bb.4:
	s_load_dword s13, s[12:13], 0x4
.LBB17_5:
	s_waitcnt lgkmcnt(0)
	s_mov_b32 s7, s13
.LBB17_6:
	s_load_dwordx4 s[36:39], s[0:1], 0x58
	s_mov_b32 s12, 0
	s_bfe_u32 s0, s3, 0x10008
	s_cmp_eq_u32 s0, 0
	s_mov_b32 s13, s12
	s_cbranch_scc1 .LBB17_12
; %bb.7:
	s_and_b64 vcc, exec, s[4:5]
	s_mov_b32 s12, s20
	s_cbranch_vccnz .LBB17_9
; %bb.8:
	s_load_dword s12, s[20:21], 0x0
.LBB17_9:
	s_and_b64 vcc, exec, s[4:5]
	s_cbranch_vccnz .LBB17_11
; %bb.10:
	s_load_dword s21, s[20:21], 0x4
.LBB17_11:
	s_waitcnt lgkmcnt(0)
	s_mov_b32 s13, s21
.LBB17_12:
	s_lshl_b32 s0, s2, 2
	v_lshrrev_b32_e32 v1, 6, v0
	s_and_b32 s0, s0, 0x3fffffc
	v_or_b32_e32 v2, s0, v1
	v_mov_b32_e32 v3, 0
	v_cmp_gt_i64_e32 vcc, s[8:9], v[2:3]
	s_and_saveexec_b64 s[0:1], vcc
	s_cbranch_execz .LBB17_41
; %bb.13:
	v_lshlrev_b32_e32 v1, 3, v2
	global_load_dwordx4 v[2:5], v1, s[14:15]
	global_load_dwordx4 v[6:9], v1, s[22:23]
	global_load_dwordx2 v[12:13], v1, s[34:35]
	v_mov_b64_e32 v[14:15], s[10:11]
	s_waitcnt vmcnt(2)
	v_subrev_co_u32_e32 v10, vcc, s24, v2
	s_nop 1
	v_subbrev_co_u32_e32 v11, vcc, 0, v3, vcc
	v_cmp_lt_i64_e32 vcc, v[2:3], v[4:5]
	s_and_saveexec_b64 s[0:1], vcc
	s_cbranch_execz .LBB17_15
; %bb.14:
	v_lshl_add_u64 v[2:3], v[10:11], 3, s[16:17]
	global_load_dwordx2 v[2:3], v[2:3], off
	s_waitcnt vmcnt(0)
	v_subrev_co_u32_e32 v14, vcc, s24, v2
	s_nop 1
	v_subbrev_co_u32_e32 v15, vcc, 0, v3, vcc
.LBB17_15:
	s_or_b64 exec, exec, s[0:1]
	s_waitcnt vmcnt(1)
	v_subrev_co_u32_e32 v18, vcc, s25, v6
	s_mov_b32 s33, s25
	s_nop 0
	v_subbrev_co_u32_e32 v19, vcc, 0, v7, vcc
	v_cmp_lt_i64_e32 vcc, v[6:7], v[8:9]
	v_mov_b64_e32 v[16:17], s[10:11]
	s_and_saveexec_b64 s[0:1], vcc
	s_cbranch_execz .LBB17_17
; %bb.16:
	v_lshl_add_u64 v[2:3], v[18:19], 3, s[28:29]
	global_load_dwordx2 v[2:3], v[2:3], off
	s_waitcnt vmcnt(0)
	v_subrev_co_u32_e32 v16, vcc, s33, v2
	s_nop 1
	v_subbrev_co_u32_e32 v17, vcc, 0, v3, vcc
.LBB17_17:
	s_or_b64 exec, exec, s[0:1]
	v_subrev_co_u32_e32 v2, vcc, s24, v4
	v_and_b32_e32 v1, 0xc0, v0
	s_nop 0
	v_subbrev_co_u32_e32 v3, vcc, 0, v5, vcc
	v_subrev_co_u32_e32 v4, vcc, s33, v8
	v_or_b32_e32 v28, 0x800, v1
	s_nop 0
	v_subbrev_co_u32_e32 v5, vcc, 0, v9, vcc
	v_lshlrev_b32_e32 v29, 3, v1
	s_waitcnt vmcnt(0)
	v_subrev_co_u32_e32 v6, vcc, s26, v12
	v_and_b32_e32 v8, 63, v0
	v_mov_b32_e32 v9, 0
	v_mbcnt_lo_u32_b32 v1, -1, 0
	v_subbrev_co_u32_e32 v7, vcc, 0, v13, vcc
	v_lshl_add_u64 v[12:13], v[18:19], 0, v[8:9]
	v_mbcnt_hi_u32_b32 v18, -1, v1
	v_and_b32_e32 v1, 64, v18
	v_cmp_lt_i64_e32 vcc, v[16:17], v[14:15]
	v_add_u32_e32 v19, 64, v1
	v_xor_b32_e32 v20, 32, v18
	v_cndmask_b32_e32 v17, v15, v17, vcc
	v_cndmask_b32_e32 v16, v14, v16, vcc
	v_cmp_lt_i32_e32 vcc, v20, v19
	s_xor_b32 s2, s7, 0x80000000
	s_xor_b32 s4, s13, 0x80000000
	v_cndmask_b32_e32 v20, v18, v20, vcc
	v_lshlrev_b32_e32 v31, 2, v20
	v_xor_b32_e32 v20, 16, v18
	v_cmp_lt_i32_e32 vcc, v20, v19
	s_add_u32 s8, s18, 4
	s_addc_u32 s9, s19, 0
	v_cndmask_b32_e32 v20, v18, v20, vcc
	v_lshlrev_b32_e32 v32, 2, v20
	v_xor_b32_e32 v20, 8, v18
	v_cmp_lt_i32_e32 vcc, v20, v19
	s_mov_b32 s27, 0
	v_bitop3_b32 v0, v0, 63, v0 bitop3:0xc
	v_cndmask_b32_e32 v20, v18, v20, vcc
	v_lshlrev_b32_e32 v33, 2, v20
	v_xor_b32_e32 v20, 4, v18
	v_cmp_lt_i32_e32 vcc, v20, v19
	s_add_u32 s14, s30, 4
	v_lshl_add_u64 v[10:11], v[10:11], 0, v[8:9]
	v_cndmask_b32_e32 v20, v18, v20, vcc
	v_lshlrev_b32_e32 v34, 2, v20
	v_xor_b32_e32 v20, 2, v18
	v_cmp_lt_i32_e32 vcc, v20, v19
	v_lshl_or_b32 v30, v8, 3, v29
	v_lshrrev_b64 v[0:1], v0, -1
	v_cndmask_b32_e32 v20, v18, v20, vcc
	v_lshlrev_b32_e32 v35, 2, v20
	v_xor_b32_e32 v20, 1, v18
	v_cmp_lt_i32_e32 vcc, v20, v19
	v_lshl_add_u64 v[14:15], s[26:27], 0, v[8:9]
	s_mov_b32 s3, s6
	v_cndmask_b32_e32 v18, v18, v20, vcc
	v_lshlrev_b32_e32 v36, 2, v18
	s_mov_b32 s5, s12
	s_addc_u32 s15, s31, 0
	s_mov_b64 s[18:19], 0
	v_add_u32_e32 v37, v28, v8
	v_mov_b32_e32 v40, v9
	v_mov_b32_e32 v41, v9
	;; [unrolled: 1-line block ×3, first 2 shown]
	s_mov_b64 s[20:21], 0x200
	s_branch .LBB17_19
.LBB17_18:                              ;   in Loop: Header=BB17_19 Depth=1
	s_or_b64 exec, exec, s[22:23]
	ds_bpermute_b32 v16, v31, v18
	ds_bpermute_b32 v17, v31, v19
	s_bcnt1_i32_b64 s26, vcc
	v_lshl_add_u64 v[6:7], s[26:27], 0, v[6:7]
	s_waitcnt lgkmcnt(0)
	v_cmp_lt_i64_e64 s[0:1], v[16:17], v[18:19]
	s_nop 1
	v_cndmask_b32_e64 v17, v19, v17, s[0:1]
	v_cndmask_b32_e64 v16, v18, v16, s[0:1]
	ds_bpermute_b32 v19, v32, v17
	ds_bpermute_b32 v18, v32, v16
	s_waitcnt lgkmcnt(0)
	v_cmp_lt_i64_e64 s[0:1], v[18:19], v[16:17]
	s_nop 1
	v_cndmask_b32_e64 v17, v17, v19, s[0:1]
	v_cndmask_b32_e64 v16, v16, v18, s[0:1]
	ds_bpermute_b32 v19, v33, v17
	ds_bpermute_b32 v18, v33, v16
	;; [unrolled: 7-line block ×5, first 2 shown]
	s_waitcnt lgkmcnt(0)
	v_cmp_lt_i64_e32 vcc, v[18:19], v[16:17]
	s_nop 1
	v_cndmask_b32_e32 v17, v17, v19, vcc
	v_cndmask_b32_e32 v16, v16, v18, vcc
	v_cmp_le_i64_e32 vcc, s[10:11], v[16:17]
	s_or_b64 s[18:19], vcc, s[18:19]
	s_andn2_b64 exec, exec, s[18:19]
	s_cbranch_execz .LBB17_41
.LBB17_19:                              ; =>This Loop Header: Depth=1
                                        ;     Child Loop BB17_22 Depth 2
                                        ;     Child Loop BB17_32 Depth 2
	v_cmp_lt_i64_e32 vcc, v[10:11], v[2:3]
	v_mov_b64_e32 v[18:19], s[10:11]
	ds_write_b8 v37, v9
	ds_write_b64 v30, v[40:41]
	s_waitcnt lgkmcnt(0)
	s_and_saveexec_b64 s[22:23], vcc
	s_cbranch_execz .LBB17_29
; %bb.20:                               ;   in Loop: Header=BB17_19 Depth=1
	v_lshlrev_b64 v[18:19], 3, v[10:11]
	v_lshl_add_u64 v[20:21], s[16:17], 0, v[18:19]
	v_lshl_add_u64 v[22:23], s[8:9], 0, v[18:19]
	s_mov_b64 s[30:31], 0
	v_mov_b64_e32 v[18:19], s[10:11]
	s_branch .LBB17_22
.LBB17_21:                              ;   in Loop: Header=BB17_22 Depth=2
	s_or_b64 exec, exec, s[34:35]
	s_and_b64 s[0:1], exec, s[0:1]
	s_or_b64 s[30:31], s[0:1], s[30:31]
	s_andn2_b64 exec, exec, s[30:31]
	s_cbranch_execz .LBB17_28
.LBB17_22:                              ;   Parent Loop BB17_19 Depth=1
                                        ; =>  This Inner Loop Header: Depth=2
	global_load_dwordx2 v[24:25], v[20:21], off
	s_waitcnt vmcnt(0)
	v_subrev_co_u32_e32 v26, vcc, s24, v24
	s_nop 1
	v_subbrev_co_u32_e32 v27, vcc, 0, v25, vcc
	v_sub_co_u32_e32 v24, vcc, v26, v16
	s_nop 1
	v_subb_co_u32_e32 v25, vcc, v27, v17, vcc
	v_cmp_gt_i64_e32 vcc, 64, v[24:25]
	v_cmp_lt_i64_e64 s[0:1], 63, v[24:25]
	s_and_saveexec_b64 s[34:35], s[0:1]
	s_xor_b64 s[34:35], exec, s[34:35]
	s_cbranch_execnz .LBB17_25
; %bb.23:                               ;   in Loop: Header=BB17_22 Depth=2
	s_andn2_saveexec_b64 s[0:1], s[34:35]
	s_cbranch_execnz .LBB17_26
.LBB17_24:                              ;   in Loop: Header=BB17_22 Depth=2
	s_or_b64 exec, exec, s[0:1]
	s_mov_b64 s[0:1], -1
	s_and_saveexec_b64 s[34:35], vcc
	s_cbranch_execz .LBB17_21
	s_branch .LBB17_27
.LBB17_25:                              ;   in Loop: Header=BB17_22 Depth=2
	v_cmp_lt_i64_e64 s[0:1], v[26:27], v[18:19]
                                        ; implicit-def: $vgpr24
	s_nop 1
	v_cndmask_b32_e64 v19, v19, v27, s[0:1]
	v_cndmask_b32_e64 v18, v18, v26, s[0:1]
	s_andn2_saveexec_b64 s[0:1], s[34:35]
	s_cbranch_execz .LBB17_24
.LBB17_26:                              ;   in Loop: Header=BB17_22 Depth=2
	global_load_dwordx2 v[26:27], v[22:23], off offset:-4
	v_add_u32_e32 v8, v28, v24
	ds_write_b8 v8, v38
	v_lshl_add_u32 v8, v24, 3, v29
	s_waitcnt vmcnt(0)
	v_pk_mul_f32 v[24:25], v[26:27], s[2:3] op_sel:[1,0]
	s_nop 0
	v_pk_fma_f32 v[24:25], s[6:7], v[26:27], v[24:25] op_sel_hi:[1,0,1]
	ds_write_b64 v8, v[24:25]
	s_or_b64 exec, exec, s[0:1]
	s_mov_b64 s[0:1], -1
	s_and_saveexec_b64 s[34:35], vcc
	s_cbranch_execz .LBB17_21
.LBB17_27:                              ;   in Loop: Header=BB17_22 Depth=2
	v_lshl_add_u64 v[10:11], v[10:11], 0, 64
	v_cmp_ge_i64_e32 vcc, v[10:11], v[2:3]
	v_lshl_add_u64 v[20:21], v[20:21], 0, s[20:21]
	v_lshl_add_u64 v[22:23], v[22:23], 0, s[20:21]
	s_orn2_b64 s[0:1], vcc, exec
	s_branch .LBB17_21
.LBB17_28:                              ;   in Loop: Header=BB17_19 Depth=1
	s_or_b64 exec, exec, s[30:31]
.LBB17_29:                              ;   in Loop: Header=BB17_19 Depth=1
	s_or_b64 exec, exec, s[22:23]
	v_cmp_lt_i64_e32 vcc, v[12:13], v[4:5]
	s_waitcnt lgkmcnt(0)
	s_and_saveexec_b64 s[22:23], vcc
	s_cbranch_execz .LBB17_39
; %bb.30:                               ;   in Loop: Header=BB17_19 Depth=1
	v_lshlrev_b64 v[22:23], 3, v[12:13]
	v_lshl_add_u64 v[20:21], s[28:29], 0, v[22:23]
	v_lshl_add_u64 v[22:23], s[14:15], 0, v[22:23]
	s_mov_b64 s[30:31], 0
	s_branch .LBB17_32
.LBB17_31:                              ;   in Loop: Header=BB17_32 Depth=2
	s_or_b64 exec, exec, s[34:35]
	s_and_b64 s[0:1], exec, s[0:1]
	s_or_b64 s[30:31], s[0:1], s[30:31]
	s_andn2_b64 exec, exec, s[30:31]
	s_cbranch_execz .LBB17_38
.LBB17_32:                              ;   Parent Loop BB17_19 Depth=1
                                        ; =>  This Inner Loop Header: Depth=2
	global_load_dwordx2 v[24:25], v[20:21], off
	s_waitcnt vmcnt(0)
	v_subrev_co_u32_e32 v26, vcc, s33, v24
	s_nop 1
	v_subbrev_co_u32_e32 v27, vcc, 0, v25, vcc
	v_sub_co_u32_e32 v24, vcc, v26, v16
	s_nop 1
	v_subb_co_u32_e32 v25, vcc, v27, v17, vcc
	v_cmp_gt_i64_e32 vcc, 64, v[24:25]
	v_cmp_lt_i64_e64 s[0:1], 63, v[24:25]
	s_and_saveexec_b64 s[34:35], s[0:1]
	s_xor_b64 s[34:35], exec, s[34:35]
	s_cbranch_execnz .LBB17_35
; %bb.33:                               ;   in Loop: Header=BB17_32 Depth=2
	s_andn2_saveexec_b64 s[0:1], s[34:35]
	s_cbranch_execnz .LBB17_36
.LBB17_34:                              ;   in Loop: Header=BB17_32 Depth=2
	s_or_b64 exec, exec, s[0:1]
	s_mov_b64 s[0:1], -1
	s_and_saveexec_b64 s[34:35], vcc
	s_cbranch_execz .LBB17_31
	s_branch .LBB17_37
.LBB17_35:                              ;   in Loop: Header=BB17_32 Depth=2
	v_cmp_lt_i64_e64 s[0:1], v[26:27], v[18:19]
                                        ; implicit-def: $vgpr24
	s_nop 1
	v_cndmask_b32_e64 v19, v19, v27, s[0:1]
	v_cndmask_b32_e64 v18, v18, v26, s[0:1]
	s_andn2_saveexec_b64 s[0:1], s[34:35]
	s_cbranch_execz .LBB17_34
.LBB17_36:                              ;   in Loop: Header=BB17_32 Depth=2
	global_load_dwordx2 v[26:27], v[22:23], off offset:-4
	v_lshl_add_u32 v8, v24, 3, v29
	ds_read_b64 v[42:43], v8
	v_add_u32_e32 v24, v28, v24
	ds_write_b8 v24, v38
	s_waitcnt vmcnt(0) lgkmcnt(1)
	v_pk_fma_f32 v[24:25], s[12:13], v[26:27], v[42:43] op_sel_hi:[1,0,1]
	s_nop 0
	v_pk_fma_f32 v[24:25], s[4:5], v[26:27], v[24:25] op_sel:[0,1,0]
	ds_write_b64 v8, v[24:25]
	s_or_b64 exec, exec, s[0:1]
	s_mov_b64 s[0:1], -1
	s_and_saveexec_b64 s[34:35], vcc
	s_cbranch_execz .LBB17_31
.LBB17_37:                              ;   in Loop: Header=BB17_32 Depth=2
	v_lshl_add_u64 v[12:13], v[12:13], 0, 64
	v_cmp_ge_i64_e32 vcc, v[12:13], v[4:5]
	v_lshl_add_u64 v[20:21], v[20:21], 0, s[20:21]
	v_lshl_add_u64 v[22:23], v[22:23], 0, s[20:21]
	s_orn2_b64 s[0:1], vcc, exec
	s_branch .LBB17_31
.LBB17_38:                              ;   in Loop: Header=BB17_19 Depth=1
	s_or_b64 exec, exec, s[30:31]
.LBB17_39:                              ;   in Loop: Header=BB17_19 Depth=1
	s_or_b64 exec, exec, s[22:23]
	s_waitcnt lgkmcnt(0)
	ds_read_u8 v8, v37
	s_waitcnt lgkmcnt(0)
	v_and_b32_e32 v20, 1, v8
	v_cmp_eq_u32_e64 s[0:1], 1, v20
	v_cmp_ne_u16_e32 vcc, 0, v8
	s_and_saveexec_b64 s[22:23], s[0:1]
	s_cbranch_execz .LBB17_18
; %bb.40:                               ;   in Loop: Header=BB17_19 Depth=1
	v_and_b32_e32 v20, vcc_lo, v0
	v_and_b32_e32 v8, vcc_hi, v1
	v_bcnt_u32_b32 v20, v20, 0
	v_bcnt_u32_b32 v8, v8, v20
	ds_read_b64 v[22:23], v30
	v_lshl_add_u64 v[20:21], v[6:7], 0, v[8:9]
	v_lshlrev_b64 v[20:21], 3, v[20:21]
	v_lshl_add_u64 v[16:17], v[14:15], 0, v[16:17]
	v_lshl_add_u64 v[24:25], s[36:37], 0, v[20:21]
	global_store_dwordx2 v[24:25], v[16:17], off offset:-8
	v_lshl_add_u64 v[16:17], s[38:39], 0, v[20:21]
	s_waitcnt lgkmcnt(0)
	global_store_dwordx2 v[16:17], v[22:23], off offset:-8
	s_branch .LBB17_18
.LBB17_41:
	s_endpgm
	.section	.rodata,"a",@progbits
	.p2align	6, 0x0
	.amdhsa_kernel _ZN9rocsparseL29csrgeam_fill_multipass_kernelILj256ELj64Ell21rocsparse_complex_numIfEEEvllNS_24const_host_device_scalarIT3_EEPKT1_PKT2_PKS4_S5_S8_SB_SD_S8_PS9_PS4_21rocsparse_index_base_SG_SG_bbb
		.amdhsa_group_segment_fixed_size 2304
		.amdhsa_private_segment_fixed_size 0
		.amdhsa_kernarg_size 120
		.amdhsa_user_sgpr_count 2
		.amdhsa_user_sgpr_dispatch_ptr 0
		.amdhsa_user_sgpr_queue_ptr 0
		.amdhsa_user_sgpr_kernarg_segment_ptr 1
		.amdhsa_user_sgpr_dispatch_id 0
		.amdhsa_user_sgpr_kernarg_preload_length 0
		.amdhsa_user_sgpr_kernarg_preload_offset 0
		.amdhsa_user_sgpr_private_segment_size 0
		.amdhsa_uses_dynamic_stack 0
		.amdhsa_enable_private_segment 0
		.amdhsa_system_sgpr_workgroup_id_x 1
		.amdhsa_system_sgpr_workgroup_id_y 0
		.amdhsa_system_sgpr_workgroup_id_z 0
		.amdhsa_system_sgpr_workgroup_info 0
		.amdhsa_system_vgpr_workitem_id 0
		.amdhsa_next_free_vgpr 44
		.amdhsa_next_free_sgpr 40
		.amdhsa_accum_offset 44
		.amdhsa_reserve_vcc 1
		.amdhsa_float_round_mode_32 0
		.amdhsa_float_round_mode_16_64 0
		.amdhsa_float_denorm_mode_32 3
		.amdhsa_float_denorm_mode_16_64 3
		.amdhsa_dx10_clamp 1
		.amdhsa_ieee_mode 1
		.amdhsa_fp16_overflow 0
		.amdhsa_tg_split 0
		.amdhsa_exception_fp_ieee_invalid_op 0
		.amdhsa_exception_fp_denorm_src 0
		.amdhsa_exception_fp_ieee_div_zero 0
		.amdhsa_exception_fp_ieee_overflow 0
		.amdhsa_exception_fp_ieee_underflow 0
		.amdhsa_exception_fp_ieee_inexact 0
		.amdhsa_exception_int_div_zero 0
	.end_amdhsa_kernel
	.section	.text._ZN9rocsparseL29csrgeam_fill_multipass_kernelILj256ELj64Ell21rocsparse_complex_numIfEEEvllNS_24const_host_device_scalarIT3_EEPKT1_PKT2_PKS4_S5_S8_SB_SD_S8_PS9_PS4_21rocsparse_index_base_SG_SG_bbb,"axG",@progbits,_ZN9rocsparseL29csrgeam_fill_multipass_kernelILj256ELj64Ell21rocsparse_complex_numIfEEEvllNS_24const_host_device_scalarIT3_EEPKT1_PKT2_PKS4_S5_S8_SB_SD_S8_PS9_PS4_21rocsparse_index_base_SG_SG_bbb,comdat
.Lfunc_end17:
	.size	_ZN9rocsparseL29csrgeam_fill_multipass_kernelILj256ELj64Ell21rocsparse_complex_numIfEEEvllNS_24const_host_device_scalarIT3_EEPKT1_PKT2_PKS4_S5_S8_SB_SD_S8_PS9_PS4_21rocsparse_index_base_SG_SG_bbb, .Lfunc_end17-_ZN9rocsparseL29csrgeam_fill_multipass_kernelILj256ELj64Ell21rocsparse_complex_numIfEEEvllNS_24const_host_device_scalarIT3_EEPKT1_PKT2_PKS4_S5_S8_SB_SD_S8_PS9_PS4_21rocsparse_index_base_SG_SG_bbb
                                        ; -- End function
	.set _ZN9rocsparseL29csrgeam_fill_multipass_kernelILj256ELj64Ell21rocsparse_complex_numIfEEEvllNS_24const_host_device_scalarIT3_EEPKT1_PKT2_PKS4_S5_S8_SB_SD_S8_PS9_PS4_21rocsparse_index_base_SG_SG_bbb.num_vgpr, 44
	.set _ZN9rocsparseL29csrgeam_fill_multipass_kernelILj256ELj64Ell21rocsparse_complex_numIfEEEvllNS_24const_host_device_scalarIT3_EEPKT1_PKT2_PKS4_S5_S8_SB_SD_S8_PS9_PS4_21rocsparse_index_base_SG_SG_bbb.num_agpr, 0
	.set _ZN9rocsparseL29csrgeam_fill_multipass_kernelILj256ELj64Ell21rocsparse_complex_numIfEEEvllNS_24const_host_device_scalarIT3_EEPKT1_PKT2_PKS4_S5_S8_SB_SD_S8_PS9_PS4_21rocsparse_index_base_SG_SG_bbb.numbered_sgpr, 40
	.set _ZN9rocsparseL29csrgeam_fill_multipass_kernelILj256ELj64Ell21rocsparse_complex_numIfEEEvllNS_24const_host_device_scalarIT3_EEPKT1_PKT2_PKS4_S5_S8_SB_SD_S8_PS9_PS4_21rocsparse_index_base_SG_SG_bbb.num_named_barrier, 0
	.set _ZN9rocsparseL29csrgeam_fill_multipass_kernelILj256ELj64Ell21rocsparse_complex_numIfEEEvllNS_24const_host_device_scalarIT3_EEPKT1_PKT2_PKS4_S5_S8_SB_SD_S8_PS9_PS4_21rocsparse_index_base_SG_SG_bbb.private_seg_size, 0
	.set _ZN9rocsparseL29csrgeam_fill_multipass_kernelILj256ELj64Ell21rocsparse_complex_numIfEEEvllNS_24const_host_device_scalarIT3_EEPKT1_PKT2_PKS4_S5_S8_SB_SD_S8_PS9_PS4_21rocsparse_index_base_SG_SG_bbb.uses_vcc, 1
	.set _ZN9rocsparseL29csrgeam_fill_multipass_kernelILj256ELj64Ell21rocsparse_complex_numIfEEEvllNS_24const_host_device_scalarIT3_EEPKT1_PKT2_PKS4_S5_S8_SB_SD_S8_PS9_PS4_21rocsparse_index_base_SG_SG_bbb.uses_flat_scratch, 0
	.set _ZN9rocsparseL29csrgeam_fill_multipass_kernelILj256ELj64Ell21rocsparse_complex_numIfEEEvllNS_24const_host_device_scalarIT3_EEPKT1_PKT2_PKS4_S5_S8_SB_SD_S8_PS9_PS4_21rocsparse_index_base_SG_SG_bbb.has_dyn_sized_stack, 0
	.set _ZN9rocsparseL29csrgeam_fill_multipass_kernelILj256ELj64Ell21rocsparse_complex_numIfEEEvllNS_24const_host_device_scalarIT3_EEPKT1_PKT2_PKS4_S5_S8_SB_SD_S8_PS9_PS4_21rocsparse_index_base_SG_SG_bbb.has_recursion, 0
	.set _ZN9rocsparseL29csrgeam_fill_multipass_kernelILj256ELj64Ell21rocsparse_complex_numIfEEEvllNS_24const_host_device_scalarIT3_EEPKT1_PKT2_PKS4_S5_S8_SB_SD_S8_PS9_PS4_21rocsparse_index_base_SG_SG_bbb.has_indirect_call, 0
	.section	.AMDGPU.csdata,"",@progbits
; Kernel info:
; codeLenInByte = 1844
; TotalNumSgprs: 46
; NumVgprs: 44
; NumAgprs: 0
; TotalNumVgprs: 44
; ScratchSize: 0
; MemoryBound: 0
; FloatMode: 240
; IeeeMode: 1
; LDSByteSize: 2304 bytes/workgroup (compile time only)
; SGPRBlocks: 5
; VGPRBlocks: 5
; NumSGPRsForWavesPerEU: 46
; NumVGPRsForWavesPerEU: 44
; AccumOffset: 44
; Occupancy: 8
; WaveLimiterHint : 1
; COMPUTE_PGM_RSRC2:SCRATCH_EN: 0
; COMPUTE_PGM_RSRC2:USER_SGPR: 2
; COMPUTE_PGM_RSRC2:TRAP_HANDLER: 0
; COMPUTE_PGM_RSRC2:TGID_X_EN: 1
; COMPUTE_PGM_RSRC2:TGID_Y_EN: 0
; COMPUTE_PGM_RSRC2:TGID_Z_EN: 0
; COMPUTE_PGM_RSRC2:TIDIG_COMP_CNT: 0
; COMPUTE_PGM_RSRC3_GFX90A:ACCUM_OFFSET: 10
; COMPUTE_PGM_RSRC3_GFX90A:TG_SPLIT: 0
	.section	.text._ZN9rocsparseL29csrgeam_fill_multipass_kernelILj256ELj32Eii21rocsparse_complex_numIdEEEvllNS_24const_host_device_scalarIT3_EEPKT1_PKT2_PKS4_S5_S8_SB_SD_S8_PS9_PS4_21rocsparse_index_base_SG_SG_bbb,"axG",@progbits,_ZN9rocsparseL29csrgeam_fill_multipass_kernelILj256ELj32Eii21rocsparse_complex_numIdEEEvllNS_24const_host_device_scalarIT3_EEPKT1_PKT2_PKS4_S5_S8_SB_SD_S8_PS9_PS4_21rocsparse_index_base_SG_SG_bbb,comdat
	.globl	_ZN9rocsparseL29csrgeam_fill_multipass_kernelILj256ELj32Eii21rocsparse_complex_numIdEEEvllNS_24const_host_device_scalarIT3_EEPKT1_PKT2_PKS4_S5_S8_SB_SD_S8_PS9_PS4_21rocsparse_index_base_SG_SG_bbb ; -- Begin function _ZN9rocsparseL29csrgeam_fill_multipass_kernelILj256ELj32Eii21rocsparse_complex_numIdEEEvllNS_24const_host_device_scalarIT3_EEPKT1_PKT2_PKS4_S5_S8_SB_SD_S8_PS9_PS4_21rocsparse_index_base_SG_SG_bbb
	.p2align	8
	.type	_ZN9rocsparseL29csrgeam_fill_multipass_kernelILj256ELj32Eii21rocsparse_complex_numIdEEEvllNS_24const_host_device_scalarIT3_EEPKT1_PKT2_PKS4_S5_S8_SB_SD_S8_PS9_PS4_21rocsparse_index_base_SG_SG_bbb,@function
_ZN9rocsparseL29csrgeam_fill_multipass_kernelILj256ELj32Eii21rocsparse_complex_numIdEEEvllNS_24const_host_device_scalarIT3_EEPKT1_PKT2_PKS4_S5_S8_SB_SD_S8_PS9_PS4_21rocsparse_index_base_SG_SG_bbb: ; @_ZN9rocsparseL29csrgeam_fill_multipass_kernelILj256ELj32Eii21rocsparse_complex_numIdEEEvllNS_24const_host_device_scalarIT3_EEPKT1_PKT2_PKS4_S5_S8_SB_SD_S8_PS9_PS4_21rocsparse_index_base_SG_SG_bbb
; %bb.0:
	s_load_dword s3, s[0:1], 0x84
	s_load_dwordx8 s[8:15], s[0:1], 0x0
	s_load_dwordx4 s[20:23], s[0:1], 0x38
	s_load_dwordx4 s[16:19], s[0:1], 0x78
	v_mov_b64_e32 v[4:5], 0
	s_waitcnt lgkmcnt(0)
	s_bitcmp1_b32 s3, 16
	s_cselect_b64 s[6:7], -1, 0
	s_xor_b64 s[4:5], s[6:7], -1
	v_mov_b64_e32 v[2:3], s[12:13]
	scratch_store_dwordx2 off, v[2:3], off
	v_mov_b64_e32 v[2:3], s[20:21]
	v_cndmask_b32_e64 v1, 0, 1, s[4:5]
	scratch_store_dwordx2 off, v[2:3], off offset:8
	s_bitcmp0_b32 s19, 0
	v_cmp_ne_u32_e64 s[4:5], 1, v1
	v_mov_b64_e32 v[2:3], 0
	v_mov_b64_e32 v[6:7], 0
	s_cbranch_scc1 .LBB18_3
; %bb.1:
	s_mov_b64 s[24:25], src_private_base
	s_and_b64 s[26:27], s[6:7], exec
	s_cselect_b32 s19, s25, s13
	s_cselect_b32 s24, 0, s12
	v_mov_b32_e32 v2, s24
	v_mov_b32_e32 v3, s19
	flat_load_dwordx2 v[2:3], v[2:3]
	s_and_b64 vcc, exec, s[4:5]
	v_mov_b64_e32 v[6:7], s[14:15]
	s_cbranch_vccnz .LBB18_3
; %bb.2:
	v_mov_b64_e32 v[6:7], s[12:13]
	flat_load_dwordx2 v[6:7], v[6:7] offset:8
.LBB18_3:
	s_bfe_u32 s3, s3, 0x10008
	s_cmp_eq_u32 s3, 0
	v_mov_b64_e32 v[8:9], 0
	s_cbranch_scc1 .LBB18_6
; %bb.4:
	s_mov_b64 s[12:13], src_private_base
	s_and_b64 s[6:7], s[6:7], exec
	s_cselect_b32 s3, s13, s21
	s_cselect_b32 s6, 8, s20
	v_mov_b32_e32 v4, s6
	v_mov_b32_e32 v5, s3
	flat_load_dwordx2 v[8:9], v[4:5]
	s_and_b64 vcc, exec, s[4:5]
	v_mov_b64_e32 v[4:5], s[22:23]
	s_cbranch_vccnz .LBB18_6
; %bb.5:
	v_mov_b64_e32 v[4:5], s[20:21]
	flat_load_dwordx2 v[4:5], v[4:5] offset:8
.LBB18_6:
	s_lshl_b32 s2, s2, 3
	v_lshrrev_b32_e32 v1, 5, v0
	s_and_b32 s2, s2, 0x7fffff8
	v_or_b32_e32 v10, s2, v1
	v_mov_b32_e32 v11, 0
	v_cmp_gt_i64_e32 vcc, s[8:9], v[10:11]
	s_and_saveexec_b64 s[2:3], vcc
	s_cbranch_execz .LBB18_37
; %bb.7:
	s_load_dwordx4 s[4:7], s[0:1], 0x20
	s_load_dwordx2 s[2:3], s[0:1], 0x48
	s_load_dwordx2 s[8:9], s[0:1], 0x60
	v_lshlrev_b32_e32 v14, 2, v10
	s_waitcnt lgkmcnt(0)
	global_load_dwordx2 v[12:13], v14, s[4:5]
	global_load_dwordx2 v[10:11], v14, s[2:3]
	global_load_dword v1, v14, s[8:9]
	s_waitcnt vmcnt(0)
	v_cmp_ge_i32_e32 vcc, v12, v13
	s_and_saveexec_b64 s[2:3], vcc
	s_xor_b64 s[2:3], exec, s[2:3]
	s_or_saveexec_b64 s[2:3], s[2:3]
	v_subrev_u32_e32 v16, s16, v12
	v_mov_b32_e32 v12, s10
	s_xor_b64 exec, exec, s[2:3]
	s_cbranch_execz .LBB18_9
; %bb.8:
	v_ashrrev_i32_e32 v17, 31, v16
	v_lshl_add_u64 v[14:15], v[16:17], 2, s[6:7]
	global_load_dword v12, v[14:15], off
	s_waitcnt vmcnt(0)
	v_subrev_u32_e32 v12, s16, v12
.LBB18_9:
	s_or_b64 exec, exec, s[2:3]
	s_load_dwordx2 s[2:3], s[0:1], 0x50
	v_cmp_ge_i32_e32 vcc, v10, v11
	v_mov_b32_e32 v31, s10
	s_and_saveexec_b64 s[4:5], vcc
	s_xor_b64 s[4:5], exec, s[4:5]
; %bb.10:
	v_mov_b32_e32 v31, s10
; %bb.11:
	s_or_saveexec_b64 s[20:21], s[4:5]
	s_load_dwordx4 s[12:15], s[0:1], 0x68
	s_load_dwordx2 s[4:5], s[0:1], 0x58
	s_load_dwordx2 s[8:9], s[0:1], 0x30
	v_subrev_u32_e32 v18, s17, v10
	v_mov_b32_e32 v10, v31
	s_xor_b64 exec, exec, s[20:21]
	s_cbranch_execz .LBB18_13
; %bb.12:
	v_ashrrev_i32_e32 v19, 31, v18
	s_waitcnt lgkmcnt(0)
	v_lshl_add_u64 v[14:15], v[18:19], 2, s[2:3]
	global_load_dword v10, v[14:15], off
	s_waitcnt vmcnt(0)
	v_subrev_u32_e32 v10, s17, v10
.LBB18_13:
	s_or_b64 exec, exec, s[20:21]
	v_subrev_u32_e32 v20, s16, v13
	v_mbcnt_lo_u32_b32 v13, -1, 0
	v_mbcnt_hi_u32_b32 v13, -1, v13
	v_and_b32_e32 v14, 0xe0, v0
	v_subrev_u32_e32 v21, s17, v11
	v_and_b32_e32 v11, 31, v0
	v_and_b32_e32 v15, 64, v13
	v_bitop3_b32 v0, v0, 31, v0 bitop3:0xc
	v_or_b32_e32 v17, 0x1000, v14
	v_lshlrev_b32_e32 v19, 4, v14
	v_min_i32_e32 v14, v10, v12
	v_add_u32_e32 v12, v18, v11
	v_add_u32_e32 v15, 64, v15
	v_lshrrev_b32_e64 v18, v0, -1
	v_xor_b32_e32 v0, 16, v13
	v_cmp_lt_i32_e32 vcc, v0, v15
	v_subrev_u32_e32 v22, s18, v1
	v_mov_b32_e32 v1, 0
	v_cndmask_b32_e32 v0, v13, v0, vcc
	v_lshlrev_b32_e32 v24, 2, v0
	v_xor_b32_e32 v0, 8, v13
	v_cmp_lt_i32_e32 vcc, v0, v15
	v_add_u32_e32 v10, v16, v11
	v_lshl_or_b32 v16, v11, 4, v19
	v_cndmask_b32_e32 v0, v13, v0, vcc
	v_lshlrev_b32_e32 v25, 2, v0
	v_xor_b32_e32 v0, 4, v13
	v_cmp_lt_i32_e32 vcc, v0, v15
	v_add_u32_e32 v23, s18, v11
	s_mov_b64 s[18:19], 0
	v_cndmask_b32_e32 v0, v13, v0, vcc
	v_lshlrev_b32_e32 v26, 2, v0
	v_xor_b32_e32 v0, 2, v13
	v_cmp_lt_i32_e32 vcc, v0, v15
	v_add_u32_e32 v29, v17, v11
	v_mov_b32_e32 v32, v1
	v_cndmask_b32_e32 v0, v13, v0, vcc
	v_lshlrev_b32_e32 v27, 2, v0
	v_xor_b32_e32 v0, 1, v13
	v_cmp_lt_i32_e32 vcc, v0, v15
	v_mov_b32_e32 v33, v1
	v_mov_b32_e32 v34, v1
	v_cndmask_b32_e32 v0, v13, v0, vcc
	v_lshlrev_b32_e32 v28, 2, v0
	v_mov_b32_e32 v35, v1
	v_mov_b32_e32 v30, 1
	s_branch .LBB18_15
.LBB18_14:                              ;   in Loop: Header=BB18_15 Depth=1
	s_or_b64 exec, exec, s[20:21]
	ds_bpermute_b32 v0, v24, v15
	s_bcnt1_i32_b64 s0, vcc
	v_add_u32_e32 v22, s0, v22
	s_waitcnt lgkmcnt(0)
	v_min_i32_e32 v0, v0, v15
	ds_bpermute_b32 v11, v25, v0
	s_waitcnt lgkmcnt(0)
	v_min_i32_e32 v0, v11, v0
	ds_bpermute_b32 v11, v26, v0
	;; [unrolled: 3-line block ×4, first 2 shown]
	s_waitcnt lgkmcnt(0)
	v_min_i32_e32 v14, v11, v0
	v_ashrrev_i32_e32 v15, 31, v14
	v_cmp_le_i64_e32 vcc, s[10:11], v[14:15]
	s_or_b64 s[18:19], vcc, s[18:19]
	s_andn2_b64 exec, exec, s[18:19]
	s_cbranch_execz .LBB18_37
.LBB18_15:                              ; =>This Loop Header: Depth=1
                                        ;     Child Loop BB18_18 Depth 2
                                        ;     Child Loop BB18_28 Depth 2
	v_cmp_lt_i32_e32 vcc, v10, v20
	v_mov_b32_e32 v15, v31
	ds_write_b8 v29, v1
	ds_write_b128 v16, v[32:35]
	s_waitcnt lgkmcnt(0)
	s_and_saveexec_b64 s[20:21], vcc
	s_cbranch_execz .LBB18_25
; %bb.16:                               ;   in Loop: Header=BB18_15 Depth=1
	s_mov_b64 s[22:23], 0
	v_mov_b32_e32 v15, v31
	s_branch .LBB18_18
.LBB18_17:                              ;   in Loop: Header=BB18_18 Depth=2
	s_or_b64 exec, exec, s[24:25]
	s_and_b64 s[0:1], exec, s[0:1]
	s_or_b64 s[22:23], s[0:1], s[22:23]
	s_andn2_b64 exec, exec, s[22:23]
	s_cbranch_execz .LBB18_24
.LBB18_18:                              ;   Parent Loop BB18_15 Depth=1
                                        ; =>  This Inner Loop Header: Depth=2
	v_ashrrev_i32_e32 v11, 31, v10
	v_lshl_add_u64 v[36:37], v[10:11], 2, s[6:7]
	global_load_dword v0, v[36:37], off
	s_waitcnt vmcnt(0)
	v_subrev_u32_e32 v13, s16, v0
	v_sub_u32_e32 v0, v13, v14
	v_cmp_gt_u32_e32 vcc, 32, v0
	v_cmp_lt_u32_e64 s[0:1], 31, v0
	s_and_saveexec_b64 s[24:25], s[0:1]
	s_xor_b64 s[0:1], exec, s[24:25]
	s_cbranch_execnz .LBB18_21
; %bb.19:                               ;   in Loop: Header=BB18_18 Depth=2
	s_andn2_saveexec_b64 s[0:1], s[0:1]
	s_cbranch_execnz .LBB18_22
.LBB18_20:                              ;   in Loop: Header=BB18_18 Depth=2
	s_or_b64 exec, exec, s[0:1]
	s_mov_b64 s[0:1], -1
	s_and_saveexec_b64 s[24:25], vcc
	s_cbranch_execz .LBB18_17
	s_branch .LBB18_23
.LBB18_21:                              ;   in Loop: Header=BB18_18 Depth=2
	v_min_i32_e32 v15, v13, v15
                                        ; implicit-def: $vgpr0
	s_andn2_saveexec_b64 s[0:1], s[0:1]
	s_cbranch_execz .LBB18_20
.LBB18_22:                              ;   in Loop: Header=BB18_18 Depth=2
	v_lshl_add_u64 v[36:37], v[10:11], 4, s[8:9]
	global_load_dwordx4 v[36:39], v[36:37], off
	v_add_u32_e32 v11, v17, v0
	v_lshl_add_u32 v0, v0, 4, v19
	ds_write_b8 v11, v30
	s_waitcnt vmcnt(0)
	v_mul_f64 v[40:41], v[38:39], -v[6:7]
	v_mul_f64 v[42:43], v[2:3], v[38:39]
	v_fmac_f64_e32 v[40:41], v[2:3], v[36:37]
	v_fmac_f64_e32 v[42:43], v[6:7], v[36:37]
	ds_write_b128 v0, v[40:43]
	s_or_b64 exec, exec, s[0:1]
	s_mov_b64 s[0:1], -1
	s_and_saveexec_b64 s[24:25], vcc
	s_cbranch_execz .LBB18_17
.LBB18_23:                              ;   in Loop: Header=BB18_18 Depth=2
	v_add_u32_e32 v10, 32, v10
	v_cmp_ge_i32_e32 vcc, v10, v20
	s_orn2_b64 s[0:1], vcc, exec
	s_branch .LBB18_17
.LBB18_24:                              ;   in Loop: Header=BB18_15 Depth=1
	s_or_b64 exec, exec, s[22:23]
.LBB18_25:                              ;   in Loop: Header=BB18_15 Depth=1
	s_or_b64 exec, exec, s[20:21]
	v_cmp_lt_i32_e32 vcc, v12, v21
	s_waitcnt lgkmcnt(0)
	s_and_saveexec_b64 s[20:21], vcc
	s_cbranch_execz .LBB18_35
; %bb.26:                               ;   in Loop: Header=BB18_15 Depth=1
	s_mov_b64 s[22:23], 0
	s_branch .LBB18_28
.LBB18_27:                              ;   in Loop: Header=BB18_28 Depth=2
	s_or_b64 exec, exec, s[24:25]
	s_and_b64 s[0:1], exec, s[0:1]
	s_or_b64 s[22:23], s[0:1], s[22:23]
	s_andn2_b64 exec, exec, s[22:23]
	s_cbranch_execz .LBB18_34
.LBB18_28:                              ;   Parent Loop BB18_15 Depth=1
                                        ; =>  This Inner Loop Header: Depth=2
	v_ashrrev_i32_e32 v13, 31, v12
	v_lshl_add_u64 v[36:37], v[12:13], 2, s[2:3]
	global_load_dword v0, v[36:37], off
	s_waitcnt vmcnt(0)
	v_subrev_u32_e32 v11, s17, v0
	v_sub_u32_e32 v0, v11, v14
	v_cmp_gt_u32_e32 vcc, 32, v0
	v_cmp_lt_u32_e64 s[0:1], 31, v0
	s_and_saveexec_b64 s[24:25], s[0:1]
	s_xor_b64 s[0:1], exec, s[24:25]
	s_cbranch_execnz .LBB18_31
; %bb.29:                               ;   in Loop: Header=BB18_28 Depth=2
	s_andn2_saveexec_b64 s[0:1], s[0:1]
	s_cbranch_execnz .LBB18_32
.LBB18_30:                              ;   in Loop: Header=BB18_28 Depth=2
	s_or_b64 exec, exec, s[0:1]
	s_mov_b64 s[0:1], -1
	s_and_saveexec_b64 s[24:25], vcc
	s_cbranch_execz .LBB18_27
	s_branch .LBB18_33
.LBB18_31:                              ;   in Loop: Header=BB18_28 Depth=2
	v_min_i32_e32 v15, v11, v15
                                        ; implicit-def: $vgpr0
	s_andn2_saveexec_b64 s[0:1], s[0:1]
	s_cbranch_execz .LBB18_30
.LBB18_32:                              ;   in Loop: Header=BB18_28 Depth=2
	v_lshl_add_u64 v[36:37], v[12:13], 4, s[4:5]
	global_load_dwordx4 v[36:39], v[36:37], off
	v_lshl_add_u32 v11, v0, 4, v19
	ds_read_b128 v[40:43], v11
	v_add_u32_e32 v0, v17, v0
	ds_write_b8 v0, v30
	s_waitcnt vmcnt(0) lgkmcnt(1)
	v_fmac_f64_e32 v[40:41], v[8:9], v[36:37]
	v_fmac_f64_e32 v[42:43], v[4:5], v[36:37]
	v_fma_f64 v[40:41], -v[4:5], v[38:39], v[40:41]
	v_fmac_f64_e32 v[42:43], v[8:9], v[38:39]
	ds_write_b128 v11, v[40:43]
	s_or_b64 exec, exec, s[0:1]
	s_mov_b64 s[0:1], -1
	s_and_saveexec_b64 s[24:25], vcc
	s_cbranch_execz .LBB18_27
.LBB18_33:                              ;   in Loop: Header=BB18_28 Depth=2
	v_add_u32_e32 v12, 32, v12
	v_cmp_ge_i32_e32 vcc, v12, v21
	s_orn2_b64 s[0:1], vcc, exec
	s_branch .LBB18_27
.LBB18_34:                              ;   in Loop: Header=BB18_15 Depth=1
	s_or_b64 exec, exec, s[22:23]
.LBB18_35:                              ;   in Loop: Header=BB18_15 Depth=1
	s_or_b64 exec, exec, s[20:21]
	s_waitcnt lgkmcnt(0)
	ds_read_u8 v0, v29
	s_waitcnt lgkmcnt(0)
	v_and_b32_e32 v11, 1, v0
	v_cmp_eq_u32_e64 s[0:1], 1, v11
	v_cmp_ne_u16_e32 vcc, 0, v0
	s_and_saveexec_b64 s[20:21], s[0:1]
	s_cbranch_execz .LBB18_14
; %bb.36:                               ;   in Loop: Header=BB18_15 Depth=1
	v_and_b32_e32 v0, vcc_lo, v18
	ds_read2_b64 v[36:39], v16 offset1:1
	v_bcnt_u32_b32 v0, v0, 0
	v_add3_u32 v0, v22, v0, -1
	v_lshl_add_u64 v[40:41], v[0:1], 4, s[14:15]
	v_lshl_add_u64 v[42:43], v[0:1], 2, s[12:13]
	v_add_u32_e32 v0, v23, v14
	global_store_dword v[42:43], v0, off
	s_waitcnt lgkmcnt(0)
	global_store_dwordx4 v[40:41], v[36:39], off
	s_branch .LBB18_14
.LBB18_37:
	s_endpgm
	.section	.rodata,"a",@progbits
	.p2align	6, 0x0
	.amdhsa_kernel _ZN9rocsparseL29csrgeam_fill_multipass_kernelILj256ELj32Eii21rocsparse_complex_numIdEEEvllNS_24const_host_device_scalarIT3_EEPKT1_PKT2_PKS4_S5_S8_SB_SD_S8_PS9_PS4_21rocsparse_index_base_SG_SG_bbb
		.amdhsa_group_segment_fixed_size 4352
		.amdhsa_private_segment_fixed_size 24
		.amdhsa_kernarg_size 136
		.amdhsa_user_sgpr_count 2
		.amdhsa_user_sgpr_dispatch_ptr 0
		.amdhsa_user_sgpr_queue_ptr 0
		.amdhsa_user_sgpr_kernarg_segment_ptr 1
		.amdhsa_user_sgpr_dispatch_id 0
		.amdhsa_user_sgpr_kernarg_preload_length 0
		.amdhsa_user_sgpr_kernarg_preload_offset 0
		.amdhsa_user_sgpr_private_segment_size 0
		.amdhsa_uses_dynamic_stack 0
		.amdhsa_enable_private_segment 1
		.amdhsa_system_sgpr_workgroup_id_x 1
		.amdhsa_system_sgpr_workgroup_id_y 0
		.amdhsa_system_sgpr_workgroup_id_z 0
		.amdhsa_system_sgpr_workgroup_info 0
		.amdhsa_system_vgpr_workitem_id 0
		.amdhsa_next_free_vgpr 44
		.amdhsa_next_free_sgpr 28
		.amdhsa_accum_offset 44
		.amdhsa_reserve_vcc 1
		.amdhsa_float_round_mode_32 0
		.amdhsa_float_round_mode_16_64 0
		.amdhsa_float_denorm_mode_32 3
		.amdhsa_float_denorm_mode_16_64 3
		.amdhsa_dx10_clamp 1
		.amdhsa_ieee_mode 1
		.amdhsa_fp16_overflow 0
		.amdhsa_tg_split 0
		.amdhsa_exception_fp_ieee_invalid_op 0
		.amdhsa_exception_fp_denorm_src 0
		.amdhsa_exception_fp_ieee_div_zero 0
		.amdhsa_exception_fp_ieee_overflow 0
		.amdhsa_exception_fp_ieee_underflow 0
		.amdhsa_exception_fp_ieee_inexact 0
		.amdhsa_exception_int_div_zero 0
	.end_amdhsa_kernel
	.section	.text._ZN9rocsparseL29csrgeam_fill_multipass_kernelILj256ELj32Eii21rocsparse_complex_numIdEEEvllNS_24const_host_device_scalarIT3_EEPKT1_PKT2_PKS4_S5_S8_SB_SD_S8_PS9_PS4_21rocsparse_index_base_SG_SG_bbb,"axG",@progbits,_ZN9rocsparseL29csrgeam_fill_multipass_kernelILj256ELj32Eii21rocsparse_complex_numIdEEEvllNS_24const_host_device_scalarIT3_EEPKT1_PKT2_PKS4_S5_S8_SB_SD_S8_PS9_PS4_21rocsparse_index_base_SG_SG_bbb,comdat
.Lfunc_end18:
	.size	_ZN9rocsparseL29csrgeam_fill_multipass_kernelILj256ELj32Eii21rocsparse_complex_numIdEEEvllNS_24const_host_device_scalarIT3_EEPKT1_PKT2_PKS4_S5_S8_SB_SD_S8_PS9_PS4_21rocsparse_index_base_SG_SG_bbb, .Lfunc_end18-_ZN9rocsparseL29csrgeam_fill_multipass_kernelILj256ELj32Eii21rocsparse_complex_numIdEEEvllNS_24const_host_device_scalarIT3_EEPKT1_PKT2_PKS4_S5_S8_SB_SD_S8_PS9_PS4_21rocsparse_index_base_SG_SG_bbb
                                        ; -- End function
	.set _ZN9rocsparseL29csrgeam_fill_multipass_kernelILj256ELj32Eii21rocsparse_complex_numIdEEEvllNS_24const_host_device_scalarIT3_EEPKT1_PKT2_PKS4_S5_S8_SB_SD_S8_PS9_PS4_21rocsparse_index_base_SG_SG_bbb.num_vgpr, 44
	.set _ZN9rocsparseL29csrgeam_fill_multipass_kernelILj256ELj32Eii21rocsparse_complex_numIdEEEvllNS_24const_host_device_scalarIT3_EEPKT1_PKT2_PKS4_S5_S8_SB_SD_S8_PS9_PS4_21rocsparse_index_base_SG_SG_bbb.num_agpr, 0
	.set _ZN9rocsparseL29csrgeam_fill_multipass_kernelILj256ELj32Eii21rocsparse_complex_numIdEEEvllNS_24const_host_device_scalarIT3_EEPKT1_PKT2_PKS4_S5_S8_SB_SD_S8_PS9_PS4_21rocsparse_index_base_SG_SG_bbb.numbered_sgpr, 28
	.set _ZN9rocsparseL29csrgeam_fill_multipass_kernelILj256ELj32Eii21rocsparse_complex_numIdEEEvllNS_24const_host_device_scalarIT3_EEPKT1_PKT2_PKS4_S5_S8_SB_SD_S8_PS9_PS4_21rocsparse_index_base_SG_SG_bbb.num_named_barrier, 0
	.set _ZN9rocsparseL29csrgeam_fill_multipass_kernelILj256ELj32Eii21rocsparse_complex_numIdEEEvllNS_24const_host_device_scalarIT3_EEPKT1_PKT2_PKS4_S5_S8_SB_SD_S8_PS9_PS4_21rocsparse_index_base_SG_SG_bbb.private_seg_size, 24
	.set _ZN9rocsparseL29csrgeam_fill_multipass_kernelILj256ELj32Eii21rocsparse_complex_numIdEEEvllNS_24const_host_device_scalarIT3_EEPKT1_PKT2_PKS4_S5_S8_SB_SD_S8_PS9_PS4_21rocsparse_index_base_SG_SG_bbb.uses_vcc, 1
	.set _ZN9rocsparseL29csrgeam_fill_multipass_kernelILj256ELj32Eii21rocsparse_complex_numIdEEEvllNS_24const_host_device_scalarIT3_EEPKT1_PKT2_PKS4_S5_S8_SB_SD_S8_PS9_PS4_21rocsparse_index_base_SG_SG_bbb.uses_flat_scratch, 0
	.set _ZN9rocsparseL29csrgeam_fill_multipass_kernelILj256ELj32Eii21rocsparse_complex_numIdEEEvllNS_24const_host_device_scalarIT3_EEPKT1_PKT2_PKS4_S5_S8_SB_SD_S8_PS9_PS4_21rocsparse_index_base_SG_SG_bbb.has_dyn_sized_stack, 0
	.set _ZN9rocsparseL29csrgeam_fill_multipass_kernelILj256ELj32Eii21rocsparse_complex_numIdEEEvllNS_24const_host_device_scalarIT3_EEPKT1_PKT2_PKS4_S5_S8_SB_SD_S8_PS9_PS4_21rocsparse_index_base_SG_SG_bbb.has_recursion, 0
	.set _ZN9rocsparseL29csrgeam_fill_multipass_kernelILj256ELj32Eii21rocsparse_complex_numIdEEEvllNS_24const_host_device_scalarIT3_EEPKT1_PKT2_PKS4_S5_S8_SB_SD_S8_PS9_PS4_21rocsparse_index_base_SG_SG_bbb.has_indirect_call, 0
	.section	.AMDGPU.csdata,"",@progbits
; Kernel info:
; codeLenInByte = 1484
; TotalNumSgprs: 34
; NumVgprs: 44
; NumAgprs: 0
; TotalNumVgprs: 44
; ScratchSize: 24
; MemoryBound: 0
; FloatMode: 240
; IeeeMode: 1
; LDSByteSize: 4352 bytes/workgroup (compile time only)
; SGPRBlocks: 4
; VGPRBlocks: 5
; NumSGPRsForWavesPerEU: 34
; NumVGPRsForWavesPerEU: 44
; AccumOffset: 44
; Occupancy: 8
; WaveLimiterHint : 1
; COMPUTE_PGM_RSRC2:SCRATCH_EN: 1
; COMPUTE_PGM_RSRC2:USER_SGPR: 2
; COMPUTE_PGM_RSRC2:TRAP_HANDLER: 0
; COMPUTE_PGM_RSRC2:TGID_X_EN: 1
; COMPUTE_PGM_RSRC2:TGID_Y_EN: 0
; COMPUTE_PGM_RSRC2:TGID_Z_EN: 0
; COMPUTE_PGM_RSRC2:TIDIG_COMP_CNT: 0
; COMPUTE_PGM_RSRC3_GFX90A:ACCUM_OFFSET: 10
; COMPUTE_PGM_RSRC3_GFX90A:TG_SPLIT: 0
	.section	.text._ZN9rocsparseL29csrgeam_fill_multipass_kernelILj256ELj64Eii21rocsparse_complex_numIdEEEvllNS_24const_host_device_scalarIT3_EEPKT1_PKT2_PKS4_S5_S8_SB_SD_S8_PS9_PS4_21rocsparse_index_base_SG_SG_bbb,"axG",@progbits,_ZN9rocsparseL29csrgeam_fill_multipass_kernelILj256ELj64Eii21rocsparse_complex_numIdEEEvllNS_24const_host_device_scalarIT3_EEPKT1_PKT2_PKS4_S5_S8_SB_SD_S8_PS9_PS4_21rocsparse_index_base_SG_SG_bbb,comdat
	.globl	_ZN9rocsparseL29csrgeam_fill_multipass_kernelILj256ELj64Eii21rocsparse_complex_numIdEEEvllNS_24const_host_device_scalarIT3_EEPKT1_PKT2_PKS4_S5_S8_SB_SD_S8_PS9_PS4_21rocsparse_index_base_SG_SG_bbb ; -- Begin function _ZN9rocsparseL29csrgeam_fill_multipass_kernelILj256ELj64Eii21rocsparse_complex_numIdEEEvllNS_24const_host_device_scalarIT3_EEPKT1_PKT2_PKS4_S5_S8_SB_SD_S8_PS9_PS4_21rocsparse_index_base_SG_SG_bbb
	.p2align	8
	.type	_ZN9rocsparseL29csrgeam_fill_multipass_kernelILj256ELj64Eii21rocsparse_complex_numIdEEEvllNS_24const_host_device_scalarIT3_EEPKT1_PKT2_PKS4_S5_S8_SB_SD_S8_PS9_PS4_21rocsparse_index_base_SG_SG_bbb,@function
_ZN9rocsparseL29csrgeam_fill_multipass_kernelILj256ELj64Eii21rocsparse_complex_numIdEEEvllNS_24const_host_device_scalarIT3_EEPKT1_PKT2_PKS4_S5_S8_SB_SD_S8_PS9_PS4_21rocsparse_index_base_SG_SG_bbb: ; @_ZN9rocsparseL29csrgeam_fill_multipass_kernelILj256ELj64Eii21rocsparse_complex_numIdEEEvllNS_24const_host_device_scalarIT3_EEPKT1_PKT2_PKS4_S5_S8_SB_SD_S8_PS9_PS4_21rocsparse_index_base_SG_SG_bbb
; %bb.0:
	s_load_dword s3, s[0:1], 0x84
	s_load_dwordx8 s[8:15], s[0:1], 0x0
	s_load_dwordx4 s[20:23], s[0:1], 0x38
	s_load_dwordx4 s[16:19], s[0:1], 0x78
	v_mov_b64_e32 v[4:5], 0
	s_waitcnt lgkmcnt(0)
	s_bitcmp1_b32 s3, 16
	s_cselect_b64 s[6:7], -1, 0
	s_xor_b64 s[4:5], s[6:7], -1
	v_mov_b64_e32 v[2:3], s[12:13]
	scratch_store_dwordx2 off, v[2:3], off
	v_mov_b64_e32 v[2:3], s[20:21]
	v_cndmask_b32_e64 v1, 0, 1, s[4:5]
	scratch_store_dwordx2 off, v[2:3], off offset:8
	s_bitcmp0_b32 s19, 0
	v_cmp_ne_u32_e64 s[4:5], 1, v1
	v_mov_b64_e32 v[2:3], 0
	v_mov_b64_e32 v[6:7], 0
	s_cbranch_scc1 .LBB19_3
; %bb.1:
	s_mov_b64 s[24:25], src_private_base
	s_and_b64 s[26:27], s[6:7], exec
	s_cselect_b32 s19, s25, s13
	s_cselect_b32 s24, 0, s12
	v_mov_b32_e32 v2, s24
	v_mov_b32_e32 v3, s19
	flat_load_dwordx2 v[2:3], v[2:3]
	s_and_b64 vcc, exec, s[4:5]
	v_mov_b64_e32 v[6:7], s[14:15]
	s_cbranch_vccnz .LBB19_3
; %bb.2:
	v_mov_b64_e32 v[6:7], s[12:13]
	flat_load_dwordx2 v[6:7], v[6:7] offset:8
.LBB19_3:
	s_bfe_u32 s3, s3, 0x10008
	s_cmp_eq_u32 s3, 0
	v_mov_b64_e32 v[8:9], 0
	s_cbranch_scc1 .LBB19_6
; %bb.4:
	s_mov_b64 s[12:13], src_private_base
	s_and_b64 s[6:7], s[6:7], exec
	s_cselect_b32 s3, s13, s21
	s_cselect_b32 s6, 8, s20
	v_mov_b32_e32 v4, s6
	v_mov_b32_e32 v5, s3
	flat_load_dwordx2 v[8:9], v[4:5]
	s_and_b64 vcc, exec, s[4:5]
	v_mov_b64_e32 v[4:5], s[22:23]
	s_cbranch_vccnz .LBB19_6
; %bb.5:
	v_mov_b64_e32 v[4:5], s[20:21]
	flat_load_dwordx2 v[4:5], v[4:5] offset:8
.LBB19_6:
	s_lshl_b32 s2, s2, 2
	v_lshrrev_b32_e32 v1, 6, v0
	s_and_b32 s2, s2, 0x3fffffc
	v_or_b32_e32 v10, s2, v1
	v_mov_b32_e32 v11, 0
	v_cmp_gt_i64_e32 vcc, s[8:9], v[10:11]
	s_and_saveexec_b64 s[2:3], vcc
	s_cbranch_execz .LBB19_37
; %bb.7:
	s_load_dwordx4 s[4:7], s[0:1], 0x20
	s_load_dwordx2 s[2:3], s[0:1], 0x48
	s_load_dwordx2 s[8:9], s[0:1], 0x60
	v_lshlrev_b32_e32 v14, 2, v10
	s_waitcnt lgkmcnt(0)
	global_load_dwordx2 v[12:13], v14, s[4:5]
	global_load_dwordx2 v[10:11], v14, s[2:3]
	global_load_dword v1, v14, s[8:9]
	s_waitcnt vmcnt(0)
	v_cmp_ge_i32_e32 vcc, v12, v13
	s_and_saveexec_b64 s[2:3], vcc
	s_xor_b64 s[2:3], exec, s[2:3]
	s_or_saveexec_b64 s[2:3], s[2:3]
	v_subrev_u32_e32 v14, s16, v12
	v_mov_b32_e32 v12, s10
	s_xor_b64 exec, exec, s[2:3]
	s_cbranch_execz .LBB19_9
; %bb.8:
	v_ashrrev_i32_e32 v15, 31, v14
	v_lshl_add_u64 v[16:17], v[14:15], 2, s[6:7]
	global_load_dword v12, v[16:17], off
	s_waitcnt vmcnt(0)
	v_subrev_u32_e32 v12, s16, v12
.LBB19_9:
	s_or_b64 exec, exec, s[2:3]
	s_load_dwordx2 s[2:3], s[0:1], 0x50
	v_cmp_ge_i32_e32 vcc, v10, v11
	v_mov_b32_e32 v33, s10
	s_and_saveexec_b64 s[4:5], vcc
	s_xor_b64 s[4:5], exec, s[4:5]
; %bb.10:
	v_mov_b32_e32 v33, s10
; %bb.11:
	s_or_saveexec_b64 s[20:21], s[4:5]
	s_load_dwordx4 s[12:15], s[0:1], 0x68
	s_load_dwordx2 s[4:5], s[0:1], 0x58
	s_load_dwordx2 s[8:9], s[0:1], 0x30
	v_subrev_u32_e32 v18, s17, v10
	v_mov_b32_e32 v10, v33
	s_xor_b64 exec, exec, s[20:21]
	s_cbranch_execz .LBB19_13
; %bb.12:
	v_ashrrev_i32_e32 v19, 31, v18
	s_waitcnt lgkmcnt(0)
	v_lshl_add_u64 v[16:17], v[18:19], 2, s[2:3]
	global_load_dword v10, v[16:17], off
	s_waitcnt vmcnt(0)
	v_subrev_u32_e32 v10, s17, v10
.LBB19_13:
	s_or_b64 exec, exec, s[20:21]
	v_subrev_u32_e32 v21, s16, v13
	v_mbcnt_lo_u32_b32 v13, -1, 0
	v_subrev_u32_e32 v22, s17, v11
	v_and_b32_e32 v11, 63, v0
	v_mbcnt_hi_u32_b32 v13, -1, v13
	v_and_b32_e32 v15, 0xc0, v0
	v_min_i32_e32 v16, v10, v12
	v_add_u32_e32 v10, v14, v11
	v_and_b32_e32 v14, 64, v13
	v_bitop3_b32 v0, v0, 63, v0 bitop3:0xc
	v_or_b32_e32 v19, 0x1000, v15
	v_lshlrev_b32_e32 v20, 4, v15
	v_add_u32_e32 v17, 64, v14
	v_lshrrev_b64 v[14:15], v0, -1
	v_xor_b32_e32 v0, 32, v13
	v_cmp_lt_i32_e32 vcc, v0, v17
	v_subrev_u32_e32 v23, s18, v1
	v_mov_b32_e32 v1, 0
	v_cndmask_b32_e32 v0, v13, v0, vcc
	v_lshlrev_b32_e32 v25, 2, v0
	v_xor_b32_e32 v0, 16, v13
	v_cmp_lt_i32_e32 vcc, v0, v17
	v_add_u32_e32 v12, v18, v11
	v_lshl_or_b32 v18, v11, 4, v20
	v_cndmask_b32_e32 v0, v13, v0, vcc
	v_lshlrev_b32_e32 v26, 2, v0
	v_xor_b32_e32 v0, 8, v13
	v_cmp_lt_i32_e32 vcc, v0, v17
	v_add_u32_e32 v24, s18, v11
	s_mov_b64 s[18:19], 0
	v_cndmask_b32_e32 v0, v13, v0, vcc
	v_lshlrev_b32_e32 v27, 2, v0
	v_xor_b32_e32 v0, 4, v13
	v_cmp_lt_i32_e32 vcc, v0, v17
	v_add_u32_e32 v31, v19, v11
	v_mov_b32_e32 v34, v1
	v_cndmask_b32_e32 v0, v13, v0, vcc
	v_lshlrev_b32_e32 v28, 2, v0
	v_xor_b32_e32 v0, 2, v13
	v_cmp_lt_i32_e32 vcc, v0, v17
	v_mov_b32_e32 v35, v1
	v_mov_b32_e32 v36, v1
	v_cndmask_b32_e32 v0, v13, v0, vcc
	v_lshlrev_b32_e32 v29, 2, v0
	v_xor_b32_e32 v0, 1, v13
	v_cmp_lt_i32_e32 vcc, v0, v17
	v_mov_b32_e32 v37, v1
	v_mov_b32_e32 v32, 1
	v_cndmask_b32_e32 v0, v13, v0, vcc
	v_lshlrev_b32_e32 v30, 2, v0
	s_branch .LBB19_15
.LBB19_14:                              ;   in Loop: Header=BB19_15 Depth=1
	s_or_b64 exec, exec, s[20:21]
	ds_bpermute_b32 v0, v25, v17
	s_bcnt1_i32_b64 s0, vcc
	v_add_u32_e32 v23, s0, v23
	s_waitcnt lgkmcnt(0)
	v_min_i32_e32 v0, v0, v17
	ds_bpermute_b32 v11, v26, v0
	s_waitcnt lgkmcnt(0)
	v_min_i32_e32 v0, v11, v0
	ds_bpermute_b32 v11, v27, v0
	;; [unrolled: 3-line block ×5, first 2 shown]
	s_waitcnt lgkmcnt(0)
	v_min_i32_e32 v16, v11, v0
	v_ashrrev_i32_e32 v17, 31, v16
	v_cmp_le_i64_e32 vcc, s[10:11], v[16:17]
	s_or_b64 s[18:19], vcc, s[18:19]
	s_andn2_b64 exec, exec, s[18:19]
	s_cbranch_execz .LBB19_37
.LBB19_15:                              ; =>This Loop Header: Depth=1
                                        ;     Child Loop BB19_18 Depth 2
                                        ;     Child Loop BB19_28 Depth 2
	v_cmp_lt_i32_e32 vcc, v10, v21
	v_mov_b32_e32 v17, v33
	ds_write_b8 v31, v1
	ds_write_b128 v18, v[34:37]
	s_waitcnt lgkmcnt(0)
	s_and_saveexec_b64 s[20:21], vcc
	s_cbranch_execz .LBB19_25
; %bb.16:                               ;   in Loop: Header=BB19_15 Depth=1
	s_mov_b64 s[22:23], 0
	v_mov_b32_e32 v17, v33
	s_branch .LBB19_18
.LBB19_17:                              ;   in Loop: Header=BB19_18 Depth=2
	s_or_b64 exec, exec, s[24:25]
	s_and_b64 s[0:1], exec, s[0:1]
	s_or_b64 s[22:23], s[0:1], s[22:23]
	s_andn2_b64 exec, exec, s[22:23]
	s_cbranch_execz .LBB19_24
.LBB19_18:                              ;   Parent Loop BB19_15 Depth=1
                                        ; =>  This Inner Loop Header: Depth=2
	v_ashrrev_i32_e32 v11, 31, v10
	v_lshl_add_u64 v[38:39], v[10:11], 2, s[6:7]
	global_load_dword v0, v[38:39], off
	s_waitcnt vmcnt(0)
	v_subrev_u32_e32 v13, s16, v0
	v_sub_u32_e32 v0, v13, v16
	v_cmp_gt_u32_e32 vcc, 64, v0
	v_cmp_lt_u32_e64 s[0:1], 63, v0
	s_and_saveexec_b64 s[24:25], s[0:1]
	s_xor_b64 s[0:1], exec, s[24:25]
	s_cbranch_execnz .LBB19_21
; %bb.19:                               ;   in Loop: Header=BB19_18 Depth=2
	s_andn2_saveexec_b64 s[0:1], s[0:1]
	s_cbranch_execnz .LBB19_22
.LBB19_20:                              ;   in Loop: Header=BB19_18 Depth=2
	s_or_b64 exec, exec, s[0:1]
	s_mov_b64 s[0:1], -1
	s_and_saveexec_b64 s[24:25], vcc
	s_cbranch_execz .LBB19_17
	s_branch .LBB19_23
.LBB19_21:                              ;   in Loop: Header=BB19_18 Depth=2
	v_min_i32_e32 v17, v13, v17
                                        ; implicit-def: $vgpr0
	s_andn2_saveexec_b64 s[0:1], s[0:1]
	s_cbranch_execz .LBB19_20
.LBB19_22:                              ;   in Loop: Header=BB19_18 Depth=2
	v_lshl_add_u64 v[38:39], v[10:11], 4, s[8:9]
	global_load_dwordx4 v[38:41], v[38:39], off
	v_add_u32_e32 v11, v19, v0
	v_lshl_add_u32 v0, v0, 4, v20
	ds_write_b8 v11, v32
	s_waitcnt vmcnt(0)
	v_mul_f64 v[42:43], v[40:41], -v[6:7]
	v_mul_f64 v[44:45], v[2:3], v[40:41]
	v_fmac_f64_e32 v[42:43], v[2:3], v[38:39]
	v_fmac_f64_e32 v[44:45], v[6:7], v[38:39]
	ds_write_b128 v0, v[42:45]
	s_or_b64 exec, exec, s[0:1]
	s_mov_b64 s[0:1], -1
	s_and_saveexec_b64 s[24:25], vcc
	s_cbranch_execz .LBB19_17
.LBB19_23:                              ;   in Loop: Header=BB19_18 Depth=2
	v_add_u32_e32 v10, 64, v10
	v_cmp_ge_i32_e32 vcc, v10, v21
	s_orn2_b64 s[0:1], vcc, exec
	s_branch .LBB19_17
.LBB19_24:                              ;   in Loop: Header=BB19_15 Depth=1
	s_or_b64 exec, exec, s[22:23]
.LBB19_25:                              ;   in Loop: Header=BB19_15 Depth=1
	s_or_b64 exec, exec, s[20:21]
	v_cmp_lt_i32_e32 vcc, v12, v22
	s_waitcnt lgkmcnt(0)
	s_and_saveexec_b64 s[20:21], vcc
	s_cbranch_execz .LBB19_35
; %bb.26:                               ;   in Loop: Header=BB19_15 Depth=1
	s_mov_b64 s[22:23], 0
	s_branch .LBB19_28
.LBB19_27:                              ;   in Loop: Header=BB19_28 Depth=2
	s_or_b64 exec, exec, s[24:25]
	s_and_b64 s[0:1], exec, s[0:1]
	s_or_b64 s[22:23], s[0:1], s[22:23]
	s_andn2_b64 exec, exec, s[22:23]
	s_cbranch_execz .LBB19_34
.LBB19_28:                              ;   Parent Loop BB19_15 Depth=1
                                        ; =>  This Inner Loop Header: Depth=2
	v_ashrrev_i32_e32 v13, 31, v12
	v_lshl_add_u64 v[38:39], v[12:13], 2, s[2:3]
	global_load_dword v0, v[38:39], off
	s_waitcnt vmcnt(0)
	v_subrev_u32_e32 v11, s17, v0
	v_sub_u32_e32 v0, v11, v16
	v_cmp_gt_u32_e32 vcc, 64, v0
	v_cmp_lt_u32_e64 s[0:1], 63, v0
	s_and_saveexec_b64 s[24:25], s[0:1]
	s_xor_b64 s[0:1], exec, s[24:25]
	s_cbranch_execnz .LBB19_31
; %bb.29:                               ;   in Loop: Header=BB19_28 Depth=2
	s_andn2_saveexec_b64 s[0:1], s[0:1]
	s_cbranch_execnz .LBB19_32
.LBB19_30:                              ;   in Loop: Header=BB19_28 Depth=2
	s_or_b64 exec, exec, s[0:1]
	s_mov_b64 s[0:1], -1
	s_and_saveexec_b64 s[24:25], vcc
	s_cbranch_execz .LBB19_27
	s_branch .LBB19_33
.LBB19_31:                              ;   in Loop: Header=BB19_28 Depth=2
	v_min_i32_e32 v17, v11, v17
                                        ; implicit-def: $vgpr0
	s_andn2_saveexec_b64 s[0:1], s[0:1]
	s_cbranch_execz .LBB19_30
.LBB19_32:                              ;   in Loop: Header=BB19_28 Depth=2
	v_lshl_add_u64 v[38:39], v[12:13], 4, s[4:5]
	global_load_dwordx4 v[38:41], v[38:39], off
	v_lshl_add_u32 v11, v0, 4, v20
	ds_read_b128 v[42:45], v11
	v_add_u32_e32 v0, v19, v0
	ds_write_b8 v0, v32
	s_waitcnt vmcnt(0) lgkmcnt(1)
	v_fmac_f64_e32 v[42:43], v[8:9], v[38:39]
	v_fmac_f64_e32 v[44:45], v[4:5], v[38:39]
	v_fma_f64 v[42:43], -v[4:5], v[40:41], v[42:43]
	v_fmac_f64_e32 v[44:45], v[8:9], v[40:41]
	ds_write_b128 v11, v[42:45]
	s_or_b64 exec, exec, s[0:1]
	s_mov_b64 s[0:1], -1
	s_and_saveexec_b64 s[24:25], vcc
	s_cbranch_execz .LBB19_27
.LBB19_33:                              ;   in Loop: Header=BB19_28 Depth=2
	v_add_u32_e32 v12, 64, v12
	v_cmp_ge_i32_e32 vcc, v12, v22
	s_orn2_b64 s[0:1], vcc, exec
	s_branch .LBB19_27
.LBB19_34:                              ;   in Loop: Header=BB19_15 Depth=1
	s_or_b64 exec, exec, s[22:23]
.LBB19_35:                              ;   in Loop: Header=BB19_15 Depth=1
	s_or_b64 exec, exec, s[20:21]
	s_waitcnt lgkmcnt(0)
	ds_read_u8 v0, v31
	s_waitcnt lgkmcnt(0)
	v_and_b32_e32 v11, 1, v0
	v_cmp_eq_u32_e64 s[0:1], 1, v11
	v_cmp_ne_u16_e32 vcc, 0, v0
	s_and_saveexec_b64 s[20:21], s[0:1]
	s_cbranch_execz .LBB19_14
; %bb.36:                               ;   in Loop: Header=BB19_15 Depth=1
	v_and_b32_e32 v11, vcc_lo, v14
	v_and_b32_e32 v0, vcc_hi, v15
	v_bcnt_u32_b32 v11, v11, 0
	ds_read2_b64 v[38:41], v18 offset1:1
	v_bcnt_u32_b32 v0, v0, v11
	v_add3_u32 v0, v23, v0, -1
	v_add_u32_e32 v11, v24, v16
	v_lshl_add_u64 v[42:43], v[0:1], 2, s[12:13]
	global_store_dword v[42:43], v11, off
	v_lshl_add_u64 v[42:43], v[0:1], 4, s[14:15]
	s_waitcnt lgkmcnt(0)
	global_store_dwordx4 v[42:43], v[38:41], off
	s_branch .LBB19_14
.LBB19_37:
	s_endpgm
	.section	.rodata,"a",@progbits
	.p2align	6, 0x0
	.amdhsa_kernel _ZN9rocsparseL29csrgeam_fill_multipass_kernelILj256ELj64Eii21rocsparse_complex_numIdEEEvllNS_24const_host_device_scalarIT3_EEPKT1_PKT2_PKS4_S5_S8_SB_SD_S8_PS9_PS4_21rocsparse_index_base_SG_SG_bbb
		.amdhsa_group_segment_fixed_size 4352
		.amdhsa_private_segment_fixed_size 24
		.amdhsa_kernarg_size 136
		.amdhsa_user_sgpr_count 2
		.amdhsa_user_sgpr_dispatch_ptr 0
		.amdhsa_user_sgpr_queue_ptr 0
		.amdhsa_user_sgpr_kernarg_segment_ptr 1
		.amdhsa_user_sgpr_dispatch_id 0
		.amdhsa_user_sgpr_kernarg_preload_length 0
		.amdhsa_user_sgpr_kernarg_preload_offset 0
		.amdhsa_user_sgpr_private_segment_size 0
		.amdhsa_uses_dynamic_stack 0
		.amdhsa_enable_private_segment 1
		.amdhsa_system_sgpr_workgroup_id_x 1
		.amdhsa_system_sgpr_workgroup_id_y 0
		.amdhsa_system_sgpr_workgroup_id_z 0
		.amdhsa_system_sgpr_workgroup_info 0
		.amdhsa_system_vgpr_workitem_id 0
		.amdhsa_next_free_vgpr 46
		.amdhsa_next_free_sgpr 28
		.amdhsa_accum_offset 48
		.amdhsa_reserve_vcc 1
		.amdhsa_float_round_mode_32 0
		.amdhsa_float_round_mode_16_64 0
		.amdhsa_float_denorm_mode_32 3
		.amdhsa_float_denorm_mode_16_64 3
		.amdhsa_dx10_clamp 1
		.amdhsa_ieee_mode 1
		.amdhsa_fp16_overflow 0
		.amdhsa_tg_split 0
		.amdhsa_exception_fp_ieee_invalid_op 0
		.amdhsa_exception_fp_denorm_src 0
		.amdhsa_exception_fp_ieee_div_zero 0
		.amdhsa_exception_fp_ieee_overflow 0
		.amdhsa_exception_fp_ieee_underflow 0
		.amdhsa_exception_fp_ieee_inexact 0
		.amdhsa_exception_int_div_zero 0
	.end_amdhsa_kernel
	.section	.text._ZN9rocsparseL29csrgeam_fill_multipass_kernelILj256ELj64Eii21rocsparse_complex_numIdEEEvllNS_24const_host_device_scalarIT3_EEPKT1_PKT2_PKS4_S5_S8_SB_SD_S8_PS9_PS4_21rocsparse_index_base_SG_SG_bbb,"axG",@progbits,_ZN9rocsparseL29csrgeam_fill_multipass_kernelILj256ELj64Eii21rocsparse_complex_numIdEEEvllNS_24const_host_device_scalarIT3_EEPKT1_PKT2_PKS4_S5_S8_SB_SD_S8_PS9_PS4_21rocsparse_index_base_SG_SG_bbb,comdat
.Lfunc_end19:
	.size	_ZN9rocsparseL29csrgeam_fill_multipass_kernelILj256ELj64Eii21rocsparse_complex_numIdEEEvllNS_24const_host_device_scalarIT3_EEPKT1_PKT2_PKS4_S5_S8_SB_SD_S8_PS9_PS4_21rocsparse_index_base_SG_SG_bbb, .Lfunc_end19-_ZN9rocsparseL29csrgeam_fill_multipass_kernelILj256ELj64Eii21rocsparse_complex_numIdEEEvllNS_24const_host_device_scalarIT3_EEPKT1_PKT2_PKS4_S5_S8_SB_SD_S8_PS9_PS4_21rocsparse_index_base_SG_SG_bbb
                                        ; -- End function
	.set _ZN9rocsparseL29csrgeam_fill_multipass_kernelILj256ELj64Eii21rocsparse_complex_numIdEEEvllNS_24const_host_device_scalarIT3_EEPKT1_PKT2_PKS4_S5_S8_SB_SD_S8_PS9_PS4_21rocsparse_index_base_SG_SG_bbb.num_vgpr, 46
	.set _ZN9rocsparseL29csrgeam_fill_multipass_kernelILj256ELj64Eii21rocsparse_complex_numIdEEEvllNS_24const_host_device_scalarIT3_EEPKT1_PKT2_PKS4_S5_S8_SB_SD_S8_PS9_PS4_21rocsparse_index_base_SG_SG_bbb.num_agpr, 0
	.set _ZN9rocsparseL29csrgeam_fill_multipass_kernelILj256ELj64Eii21rocsparse_complex_numIdEEEvllNS_24const_host_device_scalarIT3_EEPKT1_PKT2_PKS4_S5_S8_SB_SD_S8_PS9_PS4_21rocsparse_index_base_SG_SG_bbb.numbered_sgpr, 28
	.set _ZN9rocsparseL29csrgeam_fill_multipass_kernelILj256ELj64Eii21rocsparse_complex_numIdEEEvllNS_24const_host_device_scalarIT3_EEPKT1_PKT2_PKS4_S5_S8_SB_SD_S8_PS9_PS4_21rocsparse_index_base_SG_SG_bbb.num_named_barrier, 0
	.set _ZN9rocsparseL29csrgeam_fill_multipass_kernelILj256ELj64Eii21rocsparse_complex_numIdEEEvllNS_24const_host_device_scalarIT3_EEPKT1_PKT2_PKS4_S5_S8_SB_SD_S8_PS9_PS4_21rocsparse_index_base_SG_SG_bbb.private_seg_size, 24
	.set _ZN9rocsparseL29csrgeam_fill_multipass_kernelILj256ELj64Eii21rocsparse_complex_numIdEEEvllNS_24const_host_device_scalarIT3_EEPKT1_PKT2_PKS4_S5_S8_SB_SD_S8_PS9_PS4_21rocsparse_index_base_SG_SG_bbb.uses_vcc, 1
	.set _ZN9rocsparseL29csrgeam_fill_multipass_kernelILj256ELj64Eii21rocsparse_complex_numIdEEEvllNS_24const_host_device_scalarIT3_EEPKT1_PKT2_PKS4_S5_S8_SB_SD_S8_PS9_PS4_21rocsparse_index_base_SG_SG_bbb.uses_flat_scratch, 0
	.set _ZN9rocsparseL29csrgeam_fill_multipass_kernelILj256ELj64Eii21rocsparse_complex_numIdEEEvllNS_24const_host_device_scalarIT3_EEPKT1_PKT2_PKS4_S5_S8_SB_SD_S8_PS9_PS4_21rocsparse_index_base_SG_SG_bbb.has_dyn_sized_stack, 0
	.set _ZN9rocsparseL29csrgeam_fill_multipass_kernelILj256ELj64Eii21rocsparse_complex_numIdEEEvllNS_24const_host_device_scalarIT3_EEPKT1_PKT2_PKS4_S5_S8_SB_SD_S8_PS9_PS4_21rocsparse_index_base_SG_SG_bbb.has_recursion, 0
	.set _ZN9rocsparseL29csrgeam_fill_multipass_kernelILj256ELj64Eii21rocsparse_complex_numIdEEEvllNS_24const_host_device_scalarIT3_EEPKT1_PKT2_PKS4_S5_S8_SB_SD_S8_PS9_PS4_21rocsparse_index_base_SG_SG_bbb.has_indirect_call, 0
	.section	.AMDGPU.csdata,"",@progbits
; Kernel info:
; codeLenInByte = 1528
; TotalNumSgprs: 34
; NumVgprs: 46
; NumAgprs: 0
; TotalNumVgprs: 46
; ScratchSize: 24
; MemoryBound: 0
; FloatMode: 240
; IeeeMode: 1
; LDSByteSize: 4352 bytes/workgroup (compile time only)
; SGPRBlocks: 4
; VGPRBlocks: 5
; NumSGPRsForWavesPerEU: 34
; NumVGPRsForWavesPerEU: 46
; AccumOffset: 48
; Occupancy: 8
; WaveLimiterHint : 1
; COMPUTE_PGM_RSRC2:SCRATCH_EN: 1
; COMPUTE_PGM_RSRC2:USER_SGPR: 2
; COMPUTE_PGM_RSRC2:TRAP_HANDLER: 0
; COMPUTE_PGM_RSRC2:TGID_X_EN: 1
; COMPUTE_PGM_RSRC2:TGID_Y_EN: 0
; COMPUTE_PGM_RSRC2:TGID_Z_EN: 0
; COMPUTE_PGM_RSRC2:TIDIG_COMP_CNT: 0
; COMPUTE_PGM_RSRC3_GFX90A:ACCUM_OFFSET: 11
; COMPUTE_PGM_RSRC3_GFX90A:TG_SPLIT: 0
	.section	.text._ZN9rocsparseL29csrgeam_fill_multipass_kernelILj256ELj32Eli21rocsparse_complex_numIdEEEvllNS_24const_host_device_scalarIT3_EEPKT1_PKT2_PKS4_S5_S8_SB_SD_S8_PS9_PS4_21rocsparse_index_base_SG_SG_bbb,"axG",@progbits,_ZN9rocsparseL29csrgeam_fill_multipass_kernelILj256ELj32Eli21rocsparse_complex_numIdEEEvllNS_24const_host_device_scalarIT3_EEPKT1_PKT2_PKS4_S5_S8_SB_SD_S8_PS9_PS4_21rocsparse_index_base_SG_SG_bbb,comdat
	.globl	_ZN9rocsparseL29csrgeam_fill_multipass_kernelILj256ELj32Eli21rocsparse_complex_numIdEEEvllNS_24const_host_device_scalarIT3_EEPKT1_PKT2_PKS4_S5_S8_SB_SD_S8_PS9_PS4_21rocsparse_index_base_SG_SG_bbb ; -- Begin function _ZN9rocsparseL29csrgeam_fill_multipass_kernelILj256ELj32Eli21rocsparse_complex_numIdEEEvllNS_24const_host_device_scalarIT3_EEPKT1_PKT2_PKS4_S5_S8_SB_SD_S8_PS9_PS4_21rocsparse_index_base_SG_SG_bbb
	.p2align	8
	.type	_ZN9rocsparseL29csrgeam_fill_multipass_kernelILj256ELj32Eli21rocsparse_complex_numIdEEEvllNS_24const_host_device_scalarIT3_EEPKT1_PKT2_PKS4_S5_S8_SB_SD_S8_PS9_PS4_21rocsparse_index_base_SG_SG_bbb,@function
_ZN9rocsparseL29csrgeam_fill_multipass_kernelILj256ELj32Eli21rocsparse_complex_numIdEEEvllNS_24const_host_device_scalarIT3_EEPKT1_PKT2_PKS4_S5_S8_SB_SD_S8_PS9_PS4_21rocsparse_index_base_SG_SG_bbb: ; @_ZN9rocsparseL29csrgeam_fill_multipass_kernelILj256ELj32Eli21rocsparse_complex_numIdEEEvllNS_24const_host_device_scalarIT3_EEPKT1_PKT2_PKS4_S5_S8_SB_SD_S8_PS9_PS4_21rocsparse_index_base_SG_SG_bbb
; %bb.0:
	s_load_dword s3, s[0:1], 0x84
	s_load_dwordx8 s[8:15], s[0:1], 0x0
	s_load_dwordx4 s[20:23], s[0:1], 0x38
	s_load_dwordx4 s[16:19], s[0:1], 0x78
	v_mov_b64_e32 v[12:13], 0
	s_waitcnt lgkmcnt(0)
	s_bitcmp1_b32 s3, 16
	s_cselect_b64 s[6:7], -1, 0
	s_xor_b64 s[4:5], s[6:7], -1
	v_mov_b64_e32 v[2:3], s[12:13]
	v_cndmask_b32_e64 v1, 0, 1, s[4:5]
	scratch_store_dwordx2 off, v[2:3], off
	v_mov_b64_e32 v[2:3], s[20:21]
	s_bitcmp0_b32 s19, 0
	v_cmp_ne_u32_e64 s[4:5], 1, v1
	v_mov_b64_e32 v[10:11], 0
	v_mov_b64_e32 v[14:15], 0
	scratch_store_dwordx2 off, v[2:3], off offset:8
	s_cbranch_scc1 .LBB20_3
; %bb.1:
	s_mov_b64 s[24:25], src_private_base
	s_and_b64 s[26:27], s[6:7], exec
	s_cselect_b32 s19, s25, s13
	s_cselect_b32 s24, 0, s12
	v_mov_b32_e32 v2, s24
	v_mov_b32_e32 v3, s19
	flat_load_dwordx2 v[10:11], v[2:3]
	s_and_b64 vcc, exec, s[4:5]
	v_mov_b64_e32 v[14:15], s[14:15]
	s_cbranch_vccnz .LBB20_3
; %bb.2:
	v_mov_b64_e32 v[2:3], s[12:13]
	flat_load_dwordx2 v[14:15], v[2:3] offset:8
.LBB20_3:
	s_bfe_u32 s3, s3, 0x10008
	s_cmp_eq_u32 s3, 0
	v_mov_b64_e32 v[16:17], 0
	s_cbranch_scc1 .LBB20_6
; %bb.4:
	s_mov_b64 s[12:13], src_private_base
	s_and_b64 s[6:7], s[6:7], exec
	s_cselect_b32 s3, s13, s21
	s_cselect_b32 s6, 8, s20
	v_mov_b32_e32 v2, s6
	v_mov_b32_e32 v3, s3
	flat_load_dwordx2 v[16:17], v[2:3]
	s_and_b64 vcc, exec, s[4:5]
	v_mov_b64_e32 v[12:13], s[22:23]
	s_cbranch_vccnz .LBB20_6
; %bb.5:
	v_mov_b64_e32 v[2:3], s[20:21]
	flat_load_dwordx2 v[12:13], v[2:3] offset:8
.LBB20_6:
	s_lshl_b32 s2, s2, 3
	v_lshrrev_b32_e32 v1, 5, v0
	s_and_b32 s2, s2, 0x7fffff8
	v_or_b32_e32 v2, s2, v1
	v_mov_b32_e32 v3, 0
	v_cmp_gt_i64_e32 vcc, s[8:9], v[2:3]
	s_and_saveexec_b64 s[2:3], vcc
	s_cbranch_execz .LBB20_37
; %bb.7:
	s_load_dwordx4 s[4:7], s[0:1], 0x20
	s_load_dwordx2 s[2:3], s[0:1], 0x48
	s_load_dwordx2 s[8:9], s[0:1], 0x60
	v_lshlrev_b32_e32 v1, 3, v2
	s_waitcnt lgkmcnt(0)
	global_load_dwordx4 v[2:5], v1, s[4:5]
	global_load_dwordx4 v[6:9], v1, s[2:3]
	global_load_dwordx2 v[20:21], v1, s[8:9]
	s_waitcnt vmcnt(0)
	v_subrev_co_u32_e32 v18, vcc, s16, v2
	s_nop 1
	v_subbrev_co_u32_e32 v19, vcc, 0, v3, vcc
	v_cmp_ge_i64_e32 vcc, v[2:3], v[4:5]
	s_and_saveexec_b64 s[2:3], vcc
	s_xor_b64 s[2:3], exec, s[2:3]
	s_or_saveexec_b64 s[2:3], s[2:3]
	v_mov_b32_e32 v1, s10
	s_xor_b64 exec, exec, s[2:3]
	s_cbranch_execz .LBB20_9
; %bb.8:
	v_lshl_add_u64 v[2:3], v[18:19], 2, s[6:7]
	global_load_dword v1, v[2:3], off
	s_waitcnt vmcnt(0)
	v_subrev_u32_e32 v1, s16, v1
.LBB20_9:
	s_or_b64 exec, exec, s[2:3]
	s_load_dwordx4 s[12:15], s[0:1], 0x50
	s_load_dwordx2 s[4:5], s[0:1], 0x30
	v_subrev_co_u32_e32 v24, vcc, s17, v6
	s_mov_b32 s8, s17
	s_nop 0
	v_subbrev_co_u32_e32 v25, vcc, 0, v7, vcc
	v_cmp_ge_i64_e32 vcc, v[6:7], v[8:9]
	v_mov_b32_e32 v39, s10
	s_and_saveexec_b64 s[2:3], vcc
	s_xor_b64 s[2:3], exec, s[2:3]
; %bb.10:
	v_mov_b32_e32 v39, s10
; %bb.11:
	s_or_saveexec_b64 s[2:3], s[2:3]
	s_load_dwordx4 s[20:23], s[0:1], 0x68
	v_mov_b32_e32 v22, v39
	s_xor_b64 exec, exec, s[2:3]
	s_cbranch_execz .LBB20_13
; %bb.12:
	s_waitcnt lgkmcnt(0)
	v_lshl_add_u64 v[2:3], v[24:25], 2, s[12:13]
	global_load_dword v2, v[2:3], off
	s_waitcnt vmcnt(0)
	v_subrev_u32_e32 v22, s17, v2
.LBB20_13:
	s_or_b64 exec, exec, s[2:3]
	v_and_b32_e32 v2, 0xe0, v0
	v_or_b32_e32 v26, 0x1000, v2
	v_lshlrev_b32_e32 v27, 4, v2
	v_subrev_co_u32_e32 v2, vcc, s16, v4
	v_min_i32_e32 v22, v22, v1
	s_nop 0
	v_subbrev_co_u32_e32 v3, vcc, 0, v5, vcc
	v_subrev_co_u32_e32 v4, vcc, s8, v8
	v_mbcnt_lo_u32_b32 v1, -1, 0
	s_nop 0
	v_subbrev_co_u32_e32 v5, vcc, 0, v9, vcc
	v_mbcnt_hi_u32_b32 v1, -1, v1
	v_subrev_co_u32_e32 v6, vcc, s18, v20
	v_and_b32_e32 v8, 31, v0
	v_and_b32_e32 v23, 64, v1
	v_bitop3_b32 v0, v0, 31, v0 bitop3:0xc
	v_subbrev_co_u32_e32 v7, vcc, 0, v21, vcc
	v_add_u32_e32 v23, 64, v23
	v_lshrrev_b32_e64 v29, v0, -1
	v_xor_b32_e32 v0, 16, v1
	v_cmp_lt_i32_e32 vcc, v0, v23
	s_waitcnt lgkmcnt(0)
	s_add_u32 s4, s4, 8
	s_addc_u32 s5, s5, 0
	v_cndmask_b32_e32 v0, v1, v0, vcc
	v_lshlrev_b32_e32 v31, 2, v0
	v_xor_b32_e32 v0, 8, v1
	v_cmp_lt_i32_e32 vcc, v0, v23
	v_mov_b32_e32 v9, 0
	s_add_u32 s8, s14, 8
	v_cndmask_b32_e32 v0, v1, v0, vcc
	v_lshlrev_b32_e32 v32, 2, v0
	v_xor_b32_e32 v0, 4, v1
	v_cmp_lt_i32_e32 vcc, v0, v23
	s_mov_b32 s3, 0
	v_lshl_add_u64 v[18:19], v[18:19], 0, v[8:9]
	v_cndmask_b32_e32 v0, v1, v0, vcc
	v_lshlrev_b32_e32 v33, 2, v0
	v_xor_b32_e32 v0, 2, v1
	v_cmp_lt_i32_e32 vcc, v0, v23
	v_lshl_add_u64 v[20:21], v[24:25], 0, v[8:9]
	v_lshl_or_b32 v28, v8, 4, v27
	v_cndmask_b32_e32 v0, v1, v0, vcc
	v_lshlrev_b32_e32 v34, 2, v0
	v_xor_b32_e32 v0, 1, v1
	v_cmp_lt_i32_e32 vcc, v0, v23
	v_add_u32_e32 v30, s18, v8
	s_addc_u32 s9, s15, 0
	v_cndmask_b32_e32 v0, v1, v0, vcc
	v_lshlrev_b32_e32 v35, 2, v0
	s_mov_b64 s[14:15], 0
	v_add_u32_e32 v36, v26, v8
	v_mov_b32_e32 v40, v9
	v_mov_b32_e32 v41, v9
	;; [unrolled: 1-line block ×5, first 2 shown]
	s_mov_b64 s[18:19], 0x80
	s_mov_b64 s[24:25], 0x200
	s_branch .LBB20_15
.LBB20_14:                              ;   in Loop: Header=BB20_15 Depth=1
	s_or_b64 exec, exec, s[26:27]
	ds_bpermute_b32 v0, v31, v23
	s_bcnt1_i32_b64 s2, vcc
	v_lshl_add_u64 v[6:7], s[2:3], 0, v[6:7]
	s_waitcnt lgkmcnt(0)
	v_min_i32_e32 v0, v0, v23
	ds_bpermute_b32 v1, v32, v0
	s_waitcnt lgkmcnt(0)
	v_min_i32_e32 v0, v1, v0
	ds_bpermute_b32 v1, v33, v0
	s_waitcnt lgkmcnt(0)
	v_min_i32_e32 v0, v1, v0
	ds_bpermute_b32 v1, v34, v0
	s_waitcnt lgkmcnt(0)
	v_min_i32_e32 v0, v1, v0
	ds_bpermute_b32 v1, v35, v0
	s_waitcnt lgkmcnt(0)
	v_min_i32_e32 v22, v1, v0
	v_ashrrev_i32_e32 v23, 31, v22
	v_cmp_le_i64_e32 vcc, s[10:11], v[22:23]
	s_or_b64 s[14:15], vcc, s[14:15]
	s_andn2_b64 exec, exec, s[14:15]
	s_cbranch_execz .LBB20_37
.LBB20_15:                              ; =>This Loop Header: Depth=1
                                        ;     Child Loop BB20_18 Depth 2
                                        ;     Child Loop BB20_28 Depth 2
	v_cmp_lt_i64_e32 vcc, v[18:19], v[2:3]
	v_mov_b32_e32 v23, v39
	ds_write_b8 v36, v9
	ds_write_b128 v28, v[40:43]
	s_waitcnt lgkmcnt(0)
	s_and_saveexec_b64 s[26:27], vcc
	s_cbranch_execz .LBB20_25
; %bb.16:                               ;   in Loop: Header=BB20_15 Depth=1
	v_lshl_add_u64 v[0:1], v[18:19], 2, s[6:7]
	v_lshl_add_u64 v[24:25], v[18:19], 4, s[4:5]
	s_mov_b64 s[28:29], 0
	v_mov_b32_e32 v23, v39
	s_branch .LBB20_18
.LBB20_17:                              ;   in Loop: Header=BB20_18 Depth=2
	s_or_b64 exec, exec, s[30:31]
	s_and_b64 s[0:1], exec, s[0:1]
	s_or_b64 s[28:29], s[0:1], s[28:29]
	s_andn2_b64 exec, exec, s[28:29]
	s_cbranch_execz .LBB20_24
.LBB20_18:                              ;   Parent Loop BB20_15 Depth=1
                                        ; =>  This Inner Loop Header: Depth=2
	global_load_dword v8, v[0:1], off
	s_waitcnt vmcnt(0)
	v_subrev_u32_e32 v38, s16, v8
	v_sub_u32_e32 v8, v38, v22
	v_cmp_gt_u32_e32 vcc, 32, v8
	v_cmp_lt_u32_e64 s[0:1], 31, v8
	s_and_saveexec_b64 s[30:31], s[0:1]
	s_xor_b64 s[0:1], exec, s[30:31]
	s_cbranch_execnz .LBB20_21
; %bb.19:                               ;   in Loop: Header=BB20_18 Depth=2
	s_andn2_saveexec_b64 s[0:1], s[0:1]
	s_cbranch_execnz .LBB20_22
.LBB20_20:                              ;   in Loop: Header=BB20_18 Depth=2
	s_or_b64 exec, exec, s[0:1]
	s_mov_b64 s[0:1], -1
	s_and_saveexec_b64 s[30:31], vcc
	s_cbranch_execz .LBB20_17
	s_branch .LBB20_23
.LBB20_21:                              ;   in Loop: Header=BB20_18 Depth=2
	v_min_i32_e32 v23, v38, v23
                                        ; implicit-def: $vgpr8
	s_andn2_saveexec_b64 s[0:1], s[0:1]
	s_cbranch_execz .LBB20_20
.LBB20_22:                              ;   in Loop: Header=BB20_18 Depth=2
	global_load_dwordx4 v[44:47], v[24:25], off offset:-8
	v_add_u32_e32 v38, v26, v8
	v_lshl_add_u32 v8, v8, 4, v27
	ds_write_b8 v38, v37
	s_waitcnt vmcnt(0)
	v_mul_f64 v[48:49], v[46:47], -v[14:15]
	v_mul_f64 v[50:51], v[10:11], v[46:47]
	v_fmac_f64_e32 v[48:49], v[10:11], v[44:45]
	v_fmac_f64_e32 v[50:51], v[14:15], v[44:45]
	ds_write_b128 v8, v[48:51]
	s_or_b64 exec, exec, s[0:1]
	s_mov_b64 s[0:1], -1
	s_and_saveexec_b64 s[30:31], vcc
	s_cbranch_execz .LBB20_17
.LBB20_23:                              ;   in Loop: Header=BB20_18 Depth=2
	v_lshl_add_u64 v[18:19], v[18:19], 0, 32
	v_cmp_ge_i64_e32 vcc, v[18:19], v[2:3]
	v_lshl_add_u64 v[0:1], v[0:1], 0, s[18:19]
	v_lshl_add_u64 v[24:25], v[24:25], 0, s[24:25]
	s_orn2_b64 s[0:1], vcc, exec
	s_branch .LBB20_17
.LBB20_24:                              ;   in Loop: Header=BB20_15 Depth=1
	s_or_b64 exec, exec, s[28:29]
.LBB20_25:                              ;   in Loop: Header=BB20_15 Depth=1
	s_or_b64 exec, exec, s[26:27]
	v_cmp_lt_i64_e32 vcc, v[20:21], v[4:5]
	s_waitcnt lgkmcnt(0)
	s_and_saveexec_b64 s[26:27], vcc
	s_cbranch_execz .LBB20_35
; %bb.26:                               ;   in Loop: Header=BB20_15 Depth=1
	v_lshl_add_u64 v[0:1], v[20:21], 2, s[12:13]
	v_lshl_add_u64 v[24:25], v[20:21], 4, s[8:9]
	s_mov_b64 s[28:29], 0
	s_branch .LBB20_28
.LBB20_27:                              ;   in Loop: Header=BB20_28 Depth=2
	s_or_b64 exec, exec, s[30:31]
	s_and_b64 s[0:1], exec, s[0:1]
	s_or_b64 s[28:29], s[0:1], s[28:29]
	s_andn2_b64 exec, exec, s[28:29]
	s_cbranch_execz .LBB20_34
.LBB20_28:                              ;   Parent Loop BB20_15 Depth=1
                                        ; =>  This Inner Loop Header: Depth=2
	global_load_dword v8, v[0:1], off
	s_waitcnt vmcnt(0)
	v_subrev_u32_e32 v38, s17, v8
	v_sub_u32_e32 v8, v38, v22
	v_cmp_gt_u32_e32 vcc, 32, v8
	v_cmp_lt_u32_e64 s[0:1], 31, v8
	s_and_saveexec_b64 s[30:31], s[0:1]
	s_xor_b64 s[0:1], exec, s[30:31]
	s_cbranch_execnz .LBB20_31
; %bb.29:                               ;   in Loop: Header=BB20_28 Depth=2
	s_andn2_saveexec_b64 s[0:1], s[0:1]
	s_cbranch_execnz .LBB20_32
.LBB20_30:                              ;   in Loop: Header=BB20_28 Depth=2
	s_or_b64 exec, exec, s[0:1]
	s_mov_b64 s[0:1], -1
	s_and_saveexec_b64 s[30:31], vcc
	s_cbranch_execz .LBB20_27
	s_branch .LBB20_33
.LBB20_31:                              ;   in Loop: Header=BB20_28 Depth=2
	v_min_i32_e32 v23, v38, v23
                                        ; implicit-def: $vgpr8
	s_andn2_saveexec_b64 s[0:1], s[0:1]
	s_cbranch_execz .LBB20_30
.LBB20_32:                              ;   in Loop: Header=BB20_28 Depth=2
	global_load_dwordx4 v[44:47], v[24:25], off offset:-8
	v_lshl_add_u32 v38, v8, 4, v27
	ds_read_b128 v[48:51], v38
	v_add_u32_e32 v8, v26, v8
	ds_write_b8 v8, v37
	s_waitcnt vmcnt(0) lgkmcnt(1)
	v_fmac_f64_e32 v[48:49], v[16:17], v[44:45]
	v_fmac_f64_e32 v[50:51], v[12:13], v[44:45]
	v_fma_f64 v[48:49], -v[12:13], v[46:47], v[48:49]
	v_fmac_f64_e32 v[50:51], v[16:17], v[46:47]
	ds_write_b128 v38, v[48:51]
	s_or_b64 exec, exec, s[0:1]
	s_mov_b64 s[0:1], -1
	s_and_saveexec_b64 s[30:31], vcc
	s_cbranch_execz .LBB20_27
.LBB20_33:                              ;   in Loop: Header=BB20_28 Depth=2
	v_lshl_add_u64 v[20:21], v[20:21], 0, 32
	v_cmp_ge_i64_e32 vcc, v[20:21], v[4:5]
	v_lshl_add_u64 v[0:1], v[0:1], 0, s[18:19]
	v_lshl_add_u64 v[24:25], v[24:25], 0, s[24:25]
	s_orn2_b64 s[0:1], vcc, exec
	s_branch .LBB20_27
.LBB20_34:                              ;   in Loop: Header=BB20_15 Depth=1
	s_or_b64 exec, exec, s[28:29]
.LBB20_35:                              ;   in Loop: Header=BB20_15 Depth=1
	s_or_b64 exec, exec, s[26:27]
	s_waitcnt lgkmcnt(0)
	ds_read_u8 v0, v36
	s_waitcnt lgkmcnt(0)
	v_and_b32_e32 v1, 1, v0
	v_cmp_eq_u32_e64 s[0:1], 1, v1
	v_cmp_ne_u16_e32 vcc, 0, v0
	s_and_saveexec_b64 s[26:27], s[0:1]
	s_cbranch_execz .LBB20_14
; %bb.36:                               ;   in Loop: Header=BB20_15 Depth=1
	ds_read2_b64 v[44:47], v28 offset1:1
	v_and_b32_e32 v0, vcc_lo, v29
	v_bcnt_u32_b32 v8, v0, 0
	v_lshl_add_u64 v[0:1], v[6:7], 0, v[8:9]
	v_add_u32_e32 v22, v30, v22
	v_lshl_add_u64 v[24:25], v[0:1], 2, s[20:21]
	v_lshl_add_u64 v[0:1], v[0:1], 4, s[22:23]
	global_store_dword v[24:25], v22, off offset:-4
	s_waitcnt lgkmcnt(0)
	global_store_dwordx4 v[0:1], v[44:47], off offset:-16
	s_branch .LBB20_14
.LBB20_37:
	s_endpgm
	.section	.rodata,"a",@progbits
	.p2align	6, 0x0
	.amdhsa_kernel _ZN9rocsparseL29csrgeam_fill_multipass_kernelILj256ELj32Eli21rocsparse_complex_numIdEEEvllNS_24const_host_device_scalarIT3_EEPKT1_PKT2_PKS4_S5_S8_SB_SD_S8_PS9_PS4_21rocsparse_index_base_SG_SG_bbb
		.amdhsa_group_segment_fixed_size 4352
		.amdhsa_private_segment_fixed_size 24
		.amdhsa_kernarg_size 136
		.amdhsa_user_sgpr_count 2
		.amdhsa_user_sgpr_dispatch_ptr 0
		.amdhsa_user_sgpr_queue_ptr 0
		.amdhsa_user_sgpr_kernarg_segment_ptr 1
		.amdhsa_user_sgpr_dispatch_id 0
		.amdhsa_user_sgpr_kernarg_preload_length 0
		.amdhsa_user_sgpr_kernarg_preload_offset 0
		.amdhsa_user_sgpr_private_segment_size 0
		.amdhsa_uses_dynamic_stack 0
		.amdhsa_enable_private_segment 1
		.amdhsa_system_sgpr_workgroup_id_x 1
		.amdhsa_system_sgpr_workgroup_id_y 0
		.amdhsa_system_sgpr_workgroup_id_z 0
		.amdhsa_system_sgpr_workgroup_info 0
		.amdhsa_system_vgpr_workitem_id 0
		.amdhsa_next_free_vgpr 52
		.amdhsa_next_free_sgpr 32
		.amdhsa_accum_offset 52
		.amdhsa_reserve_vcc 1
		.amdhsa_float_round_mode_32 0
		.amdhsa_float_round_mode_16_64 0
		.amdhsa_float_denorm_mode_32 3
		.amdhsa_float_denorm_mode_16_64 3
		.amdhsa_dx10_clamp 1
		.amdhsa_ieee_mode 1
		.amdhsa_fp16_overflow 0
		.amdhsa_tg_split 0
		.amdhsa_exception_fp_ieee_invalid_op 0
		.amdhsa_exception_fp_denorm_src 0
		.amdhsa_exception_fp_ieee_div_zero 0
		.amdhsa_exception_fp_ieee_overflow 0
		.amdhsa_exception_fp_ieee_underflow 0
		.amdhsa_exception_fp_ieee_inexact 0
		.amdhsa_exception_int_div_zero 0
	.end_amdhsa_kernel
	.section	.text._ZN9rocsparseL29csrgeam_fill_multipass_kernelILj256ELj32Eli21rocsparse_complex_numIdEEEvllNS_24const_host_device_scalarIT3_EEPKT1_PKT2_PKS4_S5_S8_SB_SD_S8_PS9_PS4_21rocsparse_index_base_SG_SG_bbb,"axG",@progbits,_ZN9rocsparseL29csrgeam_fill_multipass_kernelILj256ELj32Eli21rocsparse_complex_numIdEEEvllNS_24const_host_device_scalarIT3_EEPKT1_PKT2_PKS4_S5_S8_SB_SD_S8_PS9_PS4_21rocsparse_index_base_SG_SG_bbb,comdat
.Lfunc_end20:
	.size	_ZN9rocsparseL29csrgeam_fill_multipass_kernelILj256ELj32Eli21rocsparse_complex_numIdEEEvllNS_24const_host_device_scalarIT3_EEPKT1_PKT2_PKS4_S5_S8_SB_SD_S8_PS9_PS4_21rocsparse_index_base_SG_SG_bbb, .Lfunc_end20-_ZN9rocsparseL29csrgeam_fill_multipass_kernelILj256ELj32Eli21rocsparse_complex_numIdEEEvllNS_24const_host_device_scalarIT3_EEPKT1_PKT2_PKS4_S5_S8_SB_SD_S8_PS9_PS4_21rocsparse_index_base_SG_SG_bbb
                                        ; -- End function
	.set _ZN9rocsparseL29csrgeam_fill_multipass_kernelILj256ELj32Eli21rocsparse_complex_numIdEEEvllNS_24const_host_device_scalarIT3_EEPKT1_PKT2_PKS4_S5_S8_SB_SD_S8_PS9_PS4_21rocsparse_index_base_SG_SG_bbb.num_vgpr, 52
	.set _ZN9rocsparseL29csrgeam_fill_multipass_kernelILj256ELj32Eli21rocsparse_complex_numIdEEEvllNS_24const_host_device_scalarIT3_EEPKT1_PKT2_PKS4_S5_S8_SB_SD_S8_PS9_PS4_21rocsparse_index_base_SG_SG_bbb.num_agpr, 0
	.set _ZN9rocsparseL29csrgeam_fill_multipass_kernelILj256ELj32Eli21rocsparse_complex_numIdEEEvllNS_24const_host_device_scalarIT3_EEPKT1_PKT2_PKS4_S5_S8_SB_SD_S8_PS9_PS4_21rocsparse_index_base_SG_SG_bbb.numbered_sgpr, 32
	.set _ZN9rocsparseL29csrgeam_fill_multipass_kernelILj256ELj32Eli21rocsparse_complex_numIdEEEvllNS_24const_host_device_scalarIT3_EEPKT1_PKT2_PKS4_S5_S8_SB_SD_S8_PS9_PS4_21rocsparse_index_base_SG_SG_bbb.num_named_barrier, 0
	.set _ZN9rocsparseL29csrgeam_fill_multipass_kernelILj256ELj32Eli21rocsparse_complex_numIdEEEvllNS_24const_host_device_scalarIT3_EEPKT1_PKT2_PKS4_S5_S8_SB_SD_S8_PS9_PS4_21rocsparse_index_base_SG_SG_bbb.private_seg_size, 24
	.set _ZN9rocsparseL29csrgeam_fill_multipass_kernelILj256ELj32Eli21rocsparse_complex_numIdEEEvllNS_24const_host_device_scalarIT3_EEPKT1_PKT2_PKS4_S5_S8_SB_SD_S8_PS9_PS4_21rocsparse_index_base_SG_SG_bbb.uses_vcc, 1
	.set _ZN9rocsparseL29csrgeam_fill_multipass_kernelILj256ELj32Eli21rocsparse_complex_numIdEEEvllNS_24const_host_device_scalarIT3_EEPKT1_PKT2_PKS4_S5_S8_SB_SD_S8_PS9_PS4_21rocsparse_index_base_SG_SG_bbb.uses_flat_scratch, 0
	.set _ZN9rocsparseL29csrgeam_fill_multipass_kernelILj256ELj32Eli21rocsparse_complex_numIdEEEvllNS_24const_host_device_scalarIT3_EEPKT1_PKT2_PKS4_S5_S8_SB_SD_S8_PS9_PS4_21rocsparse_index_base_SG_SG_bbb.has_dyn_sized_stack, 0
	.set _ZN9rocsparseL29csrgeam_fill_multipass_kernelILj256ELj32Eli21rocsparse_complex_numIdEEEvllNS_24const_host_device_scalarIT3_EEPKT1_PKT2_PKS4_S5_S8_SB_SD_S8_PS9_PS4_21rocsparse_index_base_SG_SG_bbb.has_recursion, 0
	.set _ZN9rocsparseL29csrgeam_fill_multipass_kernelILj256ELj32Eli21rocsparse_complex_numIdEEEvllNS_24const_host_device_scalarIT3_EEPKT1_PKT2_PKS4_S5_S8_SB_SD_S8_PS9_PS4_21rocsparse_index_base_SG_SG_bbb.has_indirect_call, 0
	.section	.AMDGPU.csdata,"",@progbits
; Kernel info:
; codeLenInByte = 1592
; TotalNumSgprs: 38
; NumVgprs: 52
; NumAgprs: 0
; TotalNumVgprs: 52
; ScratchSize: 24
; MemoryBound: 0
; FloatMode: 240
; IeeeMode: 1
; LDSByteSize: 4352 bytes/workgroup (compile time only)
; SGPRBlocks: 4
; VGPRBlocks: 6
; NumSGPRsForWavesPerEU: 38
; NumVGPRsForWavesPerEU: 52
; AccumOffset: 52
; Occupancy: 8
; WaveLimiterHint : 1
; COMPUTE_PGM_RSRC2:SCRATCH_EN: 1
; COMPUTE_PGM_RSRC2:USER_SGPR: 2
; COMPUTE_PGM_RSRC2:TRAP_HANDLER: 0
; COMPUTE_PGM_RSRC2:TGID_X_EN: 1
; COMPUTE_PGM_RSRC2:TGID_Y_EN: 0
; COMPUTE_PGM_RSRC2:TGID_Z_EN: 0
; COMPUTE_PGM_RSRC2:TIDIG_COMP_CNT: 0
; COMPUTE_PGM_RSRC3_GFX90A:ACCUM_OFFSET: 12
; COMPUTE_PGM_RSRC3_GFX90A:TG_SPLIT: 0
	.section	.text._ZN9rocsparseL29csrgeam_fill_multipass_kernelILj256ELj64Eli21rocsparse_complex_numIdEEEvllNS_24const_host_device_scalarIT3_EEPKT1_PKT2_PKS4_S5_S8_SB_SD_S8_PS9_PS4_21rocsparse_index_base_SG_SG_bbb,"axG",@progbits,_ZN9rocsparseL29csrgeam_fill_multipass_kernelILj256ELj64Eli21rocsparse_complex_numIdEEEvllNS_24const_host_device_scalarIT3_EEPKT1_PKT2_PKS4_S5_S8_SB_SD_S8_PS9_PS4_21rocsparse_index_base_SG_SG_bbb,comdat
	.globl	_ZN9rocsparseL29csrgeam_fill_multipass_kernelILj256ELj64Eli21rocsparse_complex_numIdEEEvllNS_24const_host_device_scalarIT3_EEPKT1_PKT2_PKS4_S5_S8_SB_SD_S8_PS9_PS4_21rocsparse_index_base_SG_SG_bbb ; -- Begin function _ZN9rocsparseL29csrgeam_fill_multipass_kernelILj256ELj64Eli21rocsparse_complex_numIdEEEvllNS_24const_host_device_scalarIT3_EEPKT1_PKT2_PKS4_S5_S8_SB_SD_S8_PS9_PS4_21rocsparse_index_base_SG_SG_bbb
	.p2align	8
	.type	_ZN9rocsparseL29csrgeam_fill_multipass_kernelILj256ELj64Eli21rocsparse_complex_numIdEEEvllNS_24const_host_device_scalarIT3_EEPKT1_PKT2_PKS4_S5_S8_SB_SD_S8_PS9_PS4_21rocsparse_index_base_SG_SG_bbb,@function
_ZN9rocsparseL29csrgeam_fill_multipass_kernelILj256ELj64Eli21rocsparse_complex_numIdEEEvllNS_24const_host_device_scalarIT3_EEPKT1_PKT2_PKS4_S5_S8_SB_SD_S8_PS9_PS4_21rocsparse_index_base_SG_SG_bbb: ; @_ZN9rocsparseL29csrgeam_fill_multipass_kernelILj256ELj64Eli21rocsparse_complex_numIdEEEvllNS_24const_host_device_scalarIT3_EEPKT1_PKT2_PKS4_S5_S8_SB_SD_S8_PS9_PS4_21rocsparse_index_base_SG_SG_bbb
; %bb.0:
	s_load_dword s3, s[0:1], 0x84
	s_load_dwordx8 s[8:15], s[0:1], 0x0
	s_load_dwordx4 s[20:23], s[0:1], 0x38
	s_load_dwordx4 s[16:19], s[0:1], 0x78
	v_mov_b64_e32 v[12:13], 0
	s_waitcnt lgkmcnt(0)
	s_bitcmp1_b32 s3, 16
	s_cselect_b64 s[6:7], -1, 0
	s_xor_b64 s[4:5], s[6:7], -1
	v_mov_b64_e32 v[2:3], s[12:13]
	v_cndmask_b32_e64 v1, 0, 1, s[4:5]
	scratch_store_dwordx2 off, v[2:3], off
	v_mov_b64_e32 v[2:3], s[20:21]
	s_bitcmp0_b32 s19, 0
	v_cmp_ne_u32_e64 s[4:5], 1, v1
	v_mov_b64_e32 v[10:11], 0
	v_mov_b64_e32 v[14:15], 0
	scratch_store_dwordx2 off, v[2:3], off offset:8
	s_cbranch_scc1 .LBB21_3
; %bb.1:
	s_mov_b64 s[24:25], src_private_base
	s_and_b64 s[26:27], s[6:7], exec
	s_cselect_b32 s19, s25, s13
	s_cselect_b32 s24, 0, s12
	v_mov_b32_e32 v2, s24
	v_mov_b32_e32 v3, s19
	flat_load_dwordx2 v[10:11], v[2:3]
	s_and_b64 vcc, exec, s[4:5]
	v_mov_b64_e32 v[14:15], s[14:15]
	s_cbranch_vccnz .LBB21_3
; %bb.2:
	v_mov_b64_e32 v[2:3], s[12:13]
	flat_load_dwordx2 v[14:15], v[2:3] offset:8
.LBB21_3:
	s_bfe_u32 s3, s3, 0x10008
	s_cmp_eq_u32 s3, 0
	v_mov_b64_e32 v[16:17], 0
	s_cbranch_scc1 .LBB21_6
; %bb.4:
	s_mov_b64 s[12:13], src_private_base
	s_and_b64 s[6:7], s[6:7], exec
	s_cselect_b32 s3, s13, s21
	s_cselect_b32 s6, 8, s20
	v_mov_b32_e32 v2, s6
	v_mov_b32_e32 v3, s3
	flat_load_dwordx2 v[16:17], v[2:3]
	s_and_b64 vcc, exec, s[4:5]
	v_mov_b64_e32 v[12:13], s[22:23]
	s_cbranch_vccnz .LBB21_6
; %bb.5:
	v_mov_b64_e32 v[2:3], s[20:21]
	flat_load_dwordx2 v[12:13], v[2:3] offset:8
.LBB21_6:
	s_lshl_b32 s2, s2, 2
	v_lshrrev_b32_e32 v1, 6, v0
	s_and_b32 s2, s2, 0x3fffffc
	v_or_b32_e32 v2, s2, v1
	v_mov_b32_e32 v3, 0
	v_cmp_gt_i64_e32 vcc, s[8:9], v[2:3]
	s_and_saveexec_b64 s[2:3], vcc
	s_cbranch_execz .LBB21_37
; %bb.7:
	s_load_dwordx4 s[4:7], s[0:1], 0x20
	s_load_dwordx2 s[2:3], s[0:1], 0x48
	s_load_dwordx2 s[8:9], s[0:1], 0x60
	v_lshlrev_b32_e32 v1, 3, v2
	s_waitcnt lgkmcnt(0)
	global_load_dwordx4 v[2:5], v1, s[4:5]
	global_load_dwordx4 v[6:9], v1, s[2:3]
	global_load_dwordx2 v[20:21], v1, s[8:9]
	s_waitcnt vmcnt(0)
	v_subrev_co_u32_e32 v18, vcc, s16, v2
	s_nop 1
	v_subbrev_co_u32_e32 v19, vcc, 0, v3, vcc
	v_cmp_ge_i64_e32 vcc, v[2:3], v[4:5]
	s_and_saveexec_b64 s[2:3], vcc
	s_xor_b64 s[2:3], exec, s[2:3]
	s_or_saveexec_b64 s[2:3], s[2:3]
	v_mov_b32_e32 v1, s10
	s_xor_b64 exec, exec, s[2:3]
	s_cbranch_execz .LBB21_9
; %bb.8:
	v_lshl_add_u64 v[2:3], v[18:19], 2, s[6:7]
	global_load_dword v1, v[2:3], off
	s_waitcnt vmcnt(0)
	v_subrev_u32_e32 v1, s16, v1
.LBB21_9:
	s_or_b64 exec, exec, s[2:3]
	s_load_dwordx4 s[12:15], s[0:1], 0x50
	s_load_dwordx2 s[4:5], s[0:1], 0x30
	v_subrev_co_u32_e32 v24, vcc, s17, v6
	s_mov_b32 s8, s17
	s_nop 0
	v_subbrev_co_u32_e32 v25, vcc, 0, v7, vcc
	v_cmp_ge_i64_e32 vcc, v[6:7], v[8:9]
	v_mov_b32_e32 v41, s10
	s_and_saveexec_b64 s[2:3], vcc
	s_xor_b64 s[2:3], exec, s[2:3]
; %bb.10:
	v_mov_b32_e32 v41, s10
; %bb.11:
	s_or_saveexec_b64 s[2:3], s[2:3]
	s_load_dwordx4 s[20:23], s[0:1], 0x68
	v_mov_b32_e32 v22, v41
	s_xor_b64 exec, exec, s[2:3]
	s_cbranch_execz .LBB21_13
; %bb.12:
	s_waitcnt lgkmcnt(0)
	v_lshl_add_u64 v[2:3], v[24:25], 2, s[12:13]
	global_load_dword v2, v[2:3], off
	s_waitcnt vmcnt(0)
	v_subrev_u32_e32 v22, s17, v2
.LBB21_13:
	s_or_b64 exec, exec, s[2:3]
	v_and_b32_e32 v2, 0xc0, v0
	v_or_b32_e32 v28, 0x1000, v2
	v_lshlrev_b32_e32 v29, 4, v2
	v_subrev_co_u32_e32 v2, vcc, s16, v4
	v_min_i32_e32 v22, v22, v1
	s_nop 0
	v_subbrev_co_u32_e32 v3, vcc, 0, v5, vcc
	v_subrev_co_u32_e32 v4, vcc, s8, v8
	v_mbcnt_lo_u32_b32 v1, -1, 0
	s_nop 0
	v_subbrev_co_u32_e32 v5, vcc, 0, v9, vcc
	v_mbcnt_hi_u32_b32 v23, -1, v1
	v_subrev_co_u32_e32 v6, vcc, s18, v20
	v_and_b32_e32 v8, 63, v0
	v_mov_b32_e32 v9, 0
	v_and_b32_e32 v1, 64, v23
	v_subbrev_co_u32_e32 v7, vcc, 0, v21, vcc
	v_lshl_add_u64 v[20:21], v[24:25], 0, v[8:9]
	v_add_u32_e32 v24, 64, v1
	v_xor_b32_e32 v25, 32, v23
	v_cmp_lt_i32_e32 vcc, v25, v24
	s_waitcnt lgkmcnt(0)
	s_add_u32 s4, s4, 8
	s_addc_u32 s5, s5, 0
	v_cndmask_b32_e32 v25, v23, v25, vcc
	v_lshlrev_b32_e32 v32, 2, v25
	v_xor_b32_e32 v25, 16, v23
	v_cmp_lt_i32_e32 vcc, v25, v24
	v_bitop3_b32 v0, v0, 63, v0 bitop3:0xc
	s_add_u32 s8, s14, 8
	v_cndmask_b32_e32 v25, v23, v25, vcc
	v_lshlrev_b32_e32 v33, 2, v25
	v_xor_b32_e32 v25, 8, v23
	v_cmp_lt_i32_e32 vcc, v25, v24
	s_mov_b32 s3, 0
	v_lshl_add_u64 v[18:19], v[18:19], 0, v[8:9]
	v_cndmask_b32_e32 v25, v23, v25, vcc
	v_lshlrev_b32_e32 v34, 2, v25
	v_xor_b32_e32 v25, 4, v23
	v_cmp_lt_i32_e32 vcc, v25, v24
	v_lshl_or_b32 v30, v8, 4, v29
	v_lshrrev_b64 v[0:1], v0, -1
	v_cndmask_b32_e32 v25, v23, v25, vcc
	v_lshlrev_b32_e32 v35, 2, v25
	v_xor_b32_e32 v25, 2, v23
	v_cmp_lt_i32_e32 vcc, v25, v24
	v_add_u32_e32 v31, s18, v8
	s_addc_u32 s9, s15, 0
	v_cndmask_b32_e32 v25, v23, v25, vcc
	v_lshlrev_b32_e32 v36, 2, v25
	v_xor_b32_e32 v25, 1, v23
	v_cmp_lt_i32_e32 vcc, v25, v24
	s_mov_b64 s[14:15], 0
	v_add_u32_e32 v38, v28, v8
	v_cndmask_b32_e32 v23, v23, v25, vcc
	v_lshlrev_b32_e32 v37, 2, v23
	v_mov_b32_e32 v42, v9
	v_mov_b32_e32 v43, v9
	;; [unrolled: 1-line block ×5, first 2 shown]
	s_mov_b64 s[18:19], 0x100
	s_mov_b64 s[24:25], 0x400
	s_branch .LBB21_15
.LBB21_14:                              ;   in Loop: Header=BB21_15 Depth=1
	s_or_b64 exec, exec, s[26:27]
	ds_bpermute_b32 v8, v32, v23
	s_bcnt1_i32_b64 s2, vcc
	v_lshl_add_u64 v[6:7], s[2:3], 0, v[6:7]
	s_waitcnt lgkmcnt(0)
	v_min_i32_e32 v8, v8, v23
	ds_bpermute_b32 v22, v33, v8
	s_waitcnt lgkmcnt(0)
	v_min_i32_e32 v8, v22, v8
	ds_bpermute_b32 v22, v34, v8
	;; [unrolled: 3-line block ×5, first 2 shown]
	s_waitcnt lgkmcnt(0)
	v_min_i32_e32 v22, v22, v8
	v_ashrrev_i32_e32 v23, 31, v22
	v_cmp_le_i64_e32 vcc, s[10:11], v[22:23]
	s_or_b64 s[14:15], vcc, s[14:15]
	s_andn2_b64 exec, exec, s[14:15]
	s_cbranch_execz .LBB21_37
.LBB21_15:                              ; =>This Loop Header: Depth=1
                                        ;     Child Loop BB21_18 Depth 2
                                        ;     Child Loop BB21_28 Depth 2
	v_cmp_lt_i64_e32 vcc, v[18:19], v[2:3]
	v_mov_b32_e32 v23, v41
	ds_write_b8 v38, v9
	ds_write_b128 v30, v[42:45]
	s_waitcnt lgkmcnt(0)
	s_and_saveexec_b64 s[26:27], vcc
	s_cbranch_execz .LBB21_25
; %bb.16:                               ;   in Loop: Header=BB21_15 Depth=1
	v_lshl_add_u64 v[24:25], v[18:19], 2, s[6:7]
	v_lshl_add_u64 v[26:27], v[18:19], 4, s[4:5]
	s_mov_b64 s[28:29], 0
	v_mov_b32_e32 v23, v41
	s_branch .LBB21_18
.LBB21_17:                              ;   in Loop: Header=BB21_18 Depth=2
	s_or_b64 exec, exec, s[30:31]
	s_and_b64 s[0:1], exec, s[0:1]
	s_or_b64 s[28:29], s[0:1], s[28:29]
	s_andn2_b64 exec, exec, s[28:29]
	s_cbranch_execz .LBB21_24
.LBB21_18:                              ;   Parent Loop BB21_15 Depth=1
                                        ; =>  This Inner Loop Header: Depth=2
	global_load_dword v8, v[24:25], off
	s_waitcnt vmcnt(0)
	v_subrev_u32_e32 v40, s16, v8
	v_sub_u32_e32 v8, v40, v22
	v_cmp_gt_u32_e32 vcc, 64, v8
	v_cmp_lt_u32_e64 s[0:1], 63, v8
	s_and_saveexec_b64 s[30:31], s[0:1]
	s_xor_b64 s[0:1], exec, s[30:31]
	s_cbranch_execnz .LBB21_21
; %bb.19:                               ;   in Loop: Header=BB21_18 Depth=2
	s_andn2_saveexec_b64 s[0:1], s[0:1]
	s_cbranch_execnz .LBB21_22
.LBB21_20:                              ;   in Loop: Header=BB21_18 Depth=2
	s_or_b64 exec, exec, s[0:1]
	s_mov_b64 s[0:1], -1
	s_and_saveexec_b64 s[30:31], vcc
	s_cbranch_execz .LBB21_17
	s_branch .LBB21_23
.LBB21_21:                              ;   in Loop: Header=BB21_18 Depth=2
	v_min_i32_e32 v23, v40, v23
                                        ; implicit-def: $vgpr8
	s_andn2_saveexec_b64 s[0:1], s[0:1]
	s_cbranch_execz .LBB21_20
.LBB21_22:                              ;   in Loop: Header=BB21_18 Depth=2
	global_load_dwordx4 v[46:49], v[26:27], off offset:-8
	v_add_u32_e32 v40, v28, v8
	v_lshl_add_u32 v8, v8, 4, v29
	ds_write_b8 v40, v39
	s_waitcnt vmcnt(0)
	v_mul_f64 v[50:51], v[48:49], -v[14:15]
	v_mul_f64 v[52:53], v[10:11], v[48:49]
	v_fmac_f64_e32 v[50:51], v[10:11], v[46:47]
	v_fmac_f64_e32 v[52:53], v[14:15], v[46:47]
	ds_write_b128 v8, v[50:53]
	s_or_b64 exec, exec, s[0:1]
	s_mov_b64 s[0:1], -1
	s_and_saveexec_b64 s[30:31], vcc
	s_cbranch_execz .LBB21_17
.LBB21_23:                              ;   in Loop: Header=BB21_18 Depth=2
	v_lshl_add_u64 v[18:19], v[18:19], 0, 64
	v_cmp_ge_i64_e32 vcc, v[18:19], v[2:3]
	v_lshl_add_u64 v[24:25], v[24:25], 0, s[18:19]
	v_lshl_add_u64 v[26:27], v[26:27], 0, s[24:25]
	s_orn2_b64 s[0:1], vcc, exec
	s_branch .LBB21_17
.LBB21_24:                              ;   in Loop: Header=BB21_15 Depth=1
	s_or_b64 exec, exec, s[28:29]
.LBB21_25:                              ;   in Loop: Header=BB21_15 Depth=1
	s_or_b64 exec, exec, s[26:27]
	v_cmp_lt_i64_e32 vcc, v[20:21], v[4:5]
	s_waitcnt lgkmcnt(0)
	s_and_saveexec_b64 s[26:27], vcc
	s_cbranch_execz .LBB21_35
; %bb.26:                               ;   in Loop: Header=BB21_15 Depth=1
	v_lshl_add_u64 v[24:25], v[20:21], 2, s[12:13]
	v_lshl_add_u64 v[26:27], v[20:21], 4, s[8:9]
	s_mov_b64 s[28:29], 0
	s_branch .LBB21_28
.LBB21_27:                              ;   in Loop: Header=BB21_28 Depth=2
	s_or_b64 exec, exec, s[30:31]
	s_and_b64 s[0:1], exec, s[0:1]
	s_or_b64 s[28:29], s[0:1], s[28:29]
	s_andn2_b64 exec, exec, s[28:29]
	s_cbranch_execz .LBB21_34
.LBB21_28:                              ;   Parent Loop BB21_15 Depth=1
                                        ; =>  This Inner Loop Header: Depth=2
	global_load_dword v8, v[24:25], off
	s_waitcnt vmcnt(0)
	v_subrev_u32_e32 v40, s17, v8
	v_sub_u32_e32 v8, v40, v22
	v_cmp_gt_u32_e32 vcc, 64, v8
	v_cmp_lt_u32_e64 s[0:1], 63, v8
	s_and_saveexec_b64 s[30:31], s[0:1]
	s_xor_b64 s[0:1], exec, s[30:31]
	s_cbranch_execnz .LBB21_31
; %bb.29:                               ;   in Loop: Header=BB21_28 Depth=2
	s_andn2_saveexec_b64 s[0:1], s[0:1]
	s_cbranch_execnz .LBB21_32
.LBB21_30:                              ;   in Loop: Header=BB21_28 Depth=2
	s_or_b64 exec, exec, s[0:1]
	s_mov_b64 s[0:1], -1
	s_and_saveexec_b64 s[30:31], vcc
	s_cbranch_execz .LBB21_27
	s_branch .LBB21_33
.LBB21_31:                              ;   in Loop: Header=BB21_28 Depth=2
	v_min_i32_e32 v23, v40, v23
                                        ; implicit-def: $vgpr8
	s_andn2_saveexec_b64 s[0:1], s[0:1]
	s_cbranch_execz .LBB21_30
.LBB21_32:                              ;   in Loop: Header=BB21_28 Depth=2
	global_load_dwordx4 v[46:49], v[26:27], off offset:-8
	v_lshl_add_u32 v40, v8, 4, v29
	ds_read_b128 v[50:53], v40
	v_add_u32_e32 v8, v28, v8
	ds_write_b8 v8, v39
	s_waitcnt vmcnt(0) lgkmcnt(1)
	v_fmac_f64_e32 v[50:51], v[16:17], v[46:47]
	v_fmac_f64_e32 v[52:53], v[12:13], v[46:47]
	v_fma_f64 v[50:51], -v[12:13], v[48:49], v[50:51]
	v_fmac_f64_e32 v[52:53], v[16:17], v[48:49]
	ds_write_b128 v40, v[50:53]
	s_or_b64 exec, exec, s[0:1]
	s_mov_b64 s[0:1], -1
	s_and_saveexec_b64 s[30:31], vcc
	s_cbranch_execz .LBB21_27
.LBB21_33:                              ;   in Loop: Header=BB21_28 Depth=2
	v_lshl_add_u64 v[20:21], v[20:21], 0, 64
	v_cmp_ge_i64_e32 vcc, v[20:21], v[4:5]
	v_lshl_add_u64 v[24:25], v[24:25], 0, s[18:19]
	v_lshl_add_u64 v[26:27], v[26:27], 0, s[24:25]
	s_orn2_b64 s[0:1], vcc, exec
	s_branch .LBB21_27
.LBB21_34:                              ;   in Loop: Header=BB21_15 Depth=1
	s_or_b64 exec, exec, s[28:29]
.LBB21_35:                              ;   in Loop: Header=BB21_15 Depth=1
	s_or_b64 exec, exec, s[26:27]
	s_waitcnt lgkmcnt(0)
	ds_read_u8 v8, v38
	s_waitcnt lgkmcnt(0)
	v_and_b32_e32 v24, 1, v8
	v_cmp_eq_u32_e64 s[0:1], 1, v24
	v_cmp_ne_u16_e32 vcc, 0, v8
	s_and_saveexec_b64 s[26:27], s[0:1]
	s_cbranch_execz .LBB21_14
; %bb.36:                               ;   in Loop: Header=BB21_15 Depth=1
	v_and_b32_e32 v24, vcc_lo, v0
	v_and_b32_e32 v8, vcc_hi, v1
	v_bcnt_u32_b32 v24, v24, 0
	v_bcnt_u32_b32 v8, v8, v24
	ds_read2_b64 v[24:27], v30 offset1:1
	v_lshl_add_u64 v[46:47], v[6:7], 0, v[8:9]
	v_add_u32_e32 v22, v31, v22
	v_lshl_add_u64 v[48:49], v[46:47], 2, s[20:21]
	v_lshl_add_u64 v[46:47], v[46:47], 4, s[22:23]
	global_store_dword v[48:49], v22, off offset:-4
	s_waitcnt lgkmcnt(0)
	global_store_dwordx4 v[46:47], v[24:27], off offset:-16
	s_branch .LBB21_14
.LBB21_37:
	s_endpgm
	.section	.rodata,"a",@progbits
	.p2align	6, 0x0
	.amdhsa_kernel _ZN9rocsparseL29csrgeam_fill_multipass_kernelILj256ELj64Eli21rocsparse_complex_numIdEEEvllNS_24const_host_device_scalarIT3_EEPKT1_PKT2_PKS4_S5_S8_SB_SD_S8_PS9_PS4_21rocsparse_index_base_SG_SG_bbb
		.amdhsa_group_segment_fixed_size 4352
		.amdhsa_private_segment_fixed_size 24
		.amdhsa_kernarg_size 136
		.amdhsa_user_sgpr_count 2
		.amdhsa_user_sgpr_dispatch_ptr 0
		.amdhsa_user_sgpr_queue_ptr 0
		.amdhsa_user_sgpr_kernarg_segment_ptr 1
		.amdhsa_user_sgpr_dispatch_id 0
		.amdhsa_user_sgpr_kernarg_preload_length 0
		.amdhsa_user_sgpr_kernarg_preload_offset 0
		.amdhsa_user_sgpr_private_segment_size 0
		.amdhsa_uses_dynamic_stack 0
		.amdhsa_enable_private_segment 1
		.amdhsa_system_sgpr_workgroup_id_x 1
		.amdhsa_system_sgpr_workgroup_id_y 0
		.amdhsa_system_sgpr_workgroup_id_z 0
		.amdhsa_system_sgpr_workgroup_info 0
		.amdhsa_system_vgpr_workitem_id 0
		.amdhsa_next_free_vgpr 54
		.amdhsa_next_free_sgpr 32
		.amdhsa_accum_offset 56
		.amdhsa_reserve_vcc 1
		.amdhsa_float_round_mode_32 0
		.amdhsa_float_round_mode_16_64 0
		.amdhsa_float_denorm_mode_32 3
		.amdhsa_float_denorm_mode_16_64 3
		.amdhsa_dx10_clamp 1
		.amdhsa_ieee_mode 1
		.amdhsa_fp16_overflow 0
		.amdhsa_tg_split 0
		.amdhsa_exception_fp_ieee_invalid_op 0
		.amdhsa_exception_fp_denorm_src 0
		.amdhsa_exception_fp_ieee_div_zero 0
		.amdhsa_exception_fp_ieee_overflow 0
		.amdhsa_exception_fp_ieee_underflow 0
		.amdhsa_exception_fp_ieee_inexact 0
		.amdhsa_exception_int_div_zero 0
	.end_amdhsa_kernel
	.section	.text._ZN9rocsparseL29csrgeam_fill_multipass_kernelILj256ELj64Eli21rocsparse_complex_numIdEEEvllNS_24const_host_device_scalarIT3_EEPKT1_PKT2_PKS4_S5_S8_SB_SD_S8_PS9_PS4_21rocsparse_index_base_SG_SG_bbb,"axG",@progbits,_ZN9rocsparseL29csrgeam_fill_multipass_kernelILj256ELj64Eli21rocsparse_complex_numIdEEEvllNS_24const_host_device_scalarIT3_EEPKT1_PKT2_PKS4_S5_S8_SB_SD_S8_PS9_PS4_21rocsparse_index_base_SG_SG_bbb,comdat
.Lfunc_end21:
	.size	_ZN9rocsparseL29csrgeam_fill_multipass_kernelILj256ELj64Eli21rocsparse_complex_numIdEEEvllNS_24const_host_device_scalarIT3_EEPKT1_PKT2_PKS4_S5_S8_SB_SD_S8_PS9_PS4_21rocsparse_index_base_SG_SG_bbb, .Lfunc_end21-_ZN9rocsparseL29csrgeam_fill_multipass_kernelILj256ELj64Eli21rocsparse_complex_numIdEEEvllNS_24const_host_device_scalarIT3_EEPKT1_PKT2_PKS4_S5_S8_SB_SD_S8_PS9_PS4_21rocsparse_index_base_SG_SG_bbb
                                        ; -- End function
	.set _ZN9rocsparseL29csrgeam_fill_multipass_kernelILj256ELj64Eli21rocsparse_complex_numIdEEEvllNS_24const_host_device_scalarIT3_EEPKT1_PKT2_PKS4_S5_S8_SB_SD_S8_PS9_PS4_21rocsparse_index_base_SG_SG_bbb.num_vgpr, 54
	.set _ZN9rocsparseL29csrgeam_fill_multipass_kernelILj256ELj64Eli21rocsparse_complex_numIdEEEvllNS_24const_host_device_scalarIT3_EEPKT1_PKT2_PKS4_S5_S8_SB_SD_S8_PS9_PS4_21rocsparse_index_base_SG_SG_bbb.num_agpr, 0
	.set _ZN9rocsparseL29csrgeam_fill_multipass_kernelILj256ELj64Eli21rocsparse_complex_numIdEEEvllNS_24const_host_device_scalarIT3_EEPKT1_PKT2_PKS4_S5_S8_SB_SD_S8_PS9_PS4_21rocsparse_index_base_SG_SG_bbb.numbered_sgpr, 32
	.set _ZN9rocsparseL29csrgeam_fill_multipass_kernelILj256ELj64Eli21rocsparse_complex_numIdEEEvllNS_24const_host_device_scalarIT3_EEPKT1_PKT2_PKS4_S5_S8_SB_SD_S8_PS9_PS4_21rocsparse_index_base_SG_SG_bbb.num_named_barrier, 0
	.set _ZN9rocsparseL29csrgeam_fill_multipass_kernelILj256ELj64Eli21rocsparse_complex_numIdEEEvllNS_24const_host_device_scalarIT3_EEPKT1_PKT2_PKS4_S5_S8_SB_SD_S8_PS9_PS4_21rocsparse_index_base_SG_SG_bbb.private_seg_size, 24
	.set _ZN9rocsparseL29csrgeam_fill_multipass_kernelILj256ELj64Eli21rocsparse_complex_numIdEEEvllNS_24const_host_device_scalarIT3_EEPKT1_PKT2_PKS4_S5_S8_SB_SD_S8_PS9_PS4_21rocsparse_index_base_SG_SG_bbb.uses_vcc, 1
	.set _ZN9rocsparseL29csrgeam_fill_multipass_kernelILj256ELj64Eli21rocsparse_complex_numIdEEEvllNS_24const_host_device_scalarIT3_EEPKT1_PKT2_PKS4_S5_S8_SB_SD_S8_PS9_PS4_21rocsparse_index_base_SG_SG_bbb.uses_flat_scratch, 0
	.set _ZN9rocsparseL29csrgeam_fill_multipass_kernelILj256ELj64Eli21rocsparse_complex_numIdEEEvllNS_24const_host_device_scalarIT3_EEPKT1_PKT2_PKS4_S5_S8_SB_SD_S8_PS9_PS4_21rocsparse_index_base_SG_SG_bbb.has_dyn_sized_stack, 0
	.set _ZN9rocsparseL29csrgeam_fill_multipass_kernelILj256ELj64Eli21rocsparse_complex_numIdEEEvllNS_24const_host_device_scalarIT3_EEPKT1_PKT2_PKS4_S5_S8_SB_SD_S8_PS9_PS4_21rocsparse_index_base_SG_SG_bbb.has_recursion, 0
	.set _ZN9rocsparseL29csrgeam_fill_multipass_kernelILj256ELj64Eli21rocsparse_complex_numIdEEEvllNS_24const_host_device_scalarIT3_EEPKT1_PKT2_PKS4_S5_S8_SB_SD_S8_PS9_PS4_21rocsparse_index_base_SG_SG_bbb.has_indirect_call, 0
	.section	.AMDGPU.csdata,"",@progbits
; Kernel info:
; codeLenInByte = 1636
; TotalNumSgprs: 38
; NumVgprs: 54
; NumAgprs: 0
; TotalNumVgprs: 54
; ScratchSize: 24
; MemoryBound: 0
; FloatMode: 240
; IeeeMode: 1
; LDSByteSize: 4352 bytes/workgroup (compile time only)
; SGPRBlocks: 4
; VGPRBlocks: 6
; NumSGPRsForWavesPerEU: 38
; NumVGPRsForWavesPerEU: 54
; AccumOffset: 56
; Occupancy: 8
; WaveLimiterHint : 1
; COMPUTE_PGM_RSRC2:SCRATCH_EN: 1
; COMPUTE_PGM_RSRC2:USER_SGPR: 2
; COMPUTE_PGM_RSRC2:TRAP_HANDLER: 0
; COMPUTE_PGM_RSRC2:TGID_X_EN: 1
; COMPUTE_PGM_RSRC2:TGID_Y_EN: 0
; COMPUTE_PGM_RSRC2:TGID_Z_EN: 0
; COMPUTE_PGM_RSRC2:TIDIG_COMP_CNT: 0
; COMPUTE_PGM_RSRC3_GFX90A:ACCUM_OFFSET: 13
; COMPUTE_PGM_RSRC3_GFX90A:TG_SPLIT: 0
	.section	.text._ZN9rocsparseL29csrgeam_fill_multipass_kernelILj256ELj32Ell21rocsparse_complex_numIdEEEvllNS_24const_host_device_scalarIT3_EEPKT1_PKT2_PKS4_S5_S8_SB_SD_S8_PS9_PS4_21rocsparse_index_base_SG_SG_bbb,"axG",@progbits,_ZN9rocsparseL29csrgeam_fill_multipass_kernelILj256ELj32Ell21rocsparse_complex_numIdEEEvllNS_24const_host_device_scalarIT3_EEPKT1_PKT2_PKS4_S5_S8_SB_SD_S8_PS9_PS4_21rocsparse_index_base_SG_SG_bbb,comdat
	.globl	_ZN9rocsparseL29csrgeam_fill_multipass_kernelILj256ELj32Ell21rocsparse_complex_numIdEEEvllNS_24const_host_device_scalarIT3_EEPKT1_PKT2_PKS4_S5_S8_SB_SD_S8_PS9_PS4_21rocsparse_index_base_SG_SG_bbb ; -- Begin function _ZN9rocsparseL29csrgeam_fill_multipass_kernelILj256ELj32Ell21rocsparse_complex_numIdEEEvllNS_24const_host_device_scalarIT3_EEPKT1_PKT2_PKS4_S5_S8_SB_SD_S8_PS9_PS4_21rocsparse_index_base_SG_SG_bbb
	.p2align	8
	.type	_ZN9rocsparseL29csrgeam_fill_multipass_kernelILj256ELj32Ell21rocsparse_complex_numIdEEEvllNS_24const_host_device_scalarIT3_EEPKT1_PKT2_PKS4_S5_S8_SB_SD_S8_PS9_PS4_21rocsparse_index_base_SG_SG_bbb,@function
_ZN9rocsparseL29csrgeam_fill_multipass_kernelILj256ELj32Ell21rocsparse_complex_numIdEEEvllNS_24const_host_device_scalarIT3_EEPKT1_PKT2_PKS4_S5_S8_SB_SD_S8_PS9_PS4_21rocsparse_index_base_SG_SG_bbb: ; @_ZN9rocsparseL29csrgeam_fill_multipass_kernelILj256ELj32Ell21rocsparse_complex_numIdEEEvllNS_24const_host_device_scalarIT3_EEPKT1_PKT2_PKS4_S5_S8_SB_SD_S8_PS9_PS4_21rocsparse_index_base_SG_SG_bbb
; %bb.0:
	s_load_dword s3, s[0:1], 0x84
	s_load_dwordx8 s[8:15], s[0:1], 0x0
	s_load_dwordx4 s[16:19], s[0:1], 0x38
	s_load_dwordx4 s[20:23], s[0:1], 0x78
	v_mov_b64_e32 v[12:13], 0
	s_waitcnt lgkmcnt(0)
	s_bitcmp1_b32 s3, 16
	s_cselect_b64 s[6:7], -1, 0
	s_xor_b64 s[4:5], s[6:7], -1
	v_mov_b64_e32 v[2:3], s[12:13]
	v_cndmask_b32_e64 v1, 0, 1, s[4:5]
	scratch_store_dwordx2 off, v[2:3], off
	v_mov_b64_e32 v[2:3], s[16:17]
	s_bitcmp0_b32 s23, 0
	v_cmp_ne_u32_e64 s[4:5], 1, v1
	v_mov_b64_e32 v[10:11], 0
	v_mov_b64_e32 v[14:15], 0
	scratch_store_dwordx2 off, v[2:3], off offset:8
	s_cbranch_scc1 .LBB22_3
; %bb.1:
	s_mov_b64 s[24:25], src_private_base
	s_and_b64 s[26:27], s[6:7], exec
	s_cselect_b32 s23, s25, s13
	s_cselect_b32 s24, 0, s12
	v_mov_b32_e32 v2, s24
	v_mov_b32_e32 v3, s23
	flat_load_dwordx2 v[10:11], v[2:3]
	s_and_b64 vcc, exec, s[4:5]
	v_mov_b64_e32 v[14:15], s[14:15]
	s_cbranch_vccnz .LBB22_3
; %bb.2:
	v_mov_b64_e32 v[2:3], s[12:13]
	flat_load_dwordx2 v[14:15], v[2:3] offset:8
.LBB22_3:
	s_bfe_u32 s3, s3, 0x10008
	s_cmp_eq_u32 s3, 0
	v_mov_b64_e32 v[16:17], 0
	s_cbranch_scc1 .LBB22_6
; %bb.4:
	s_mov_b64 s[12:13], src_private_base
	s_and_b64 s[6:7], s[6:7], exec
	s_cselect_b32 s3, s13, s17
	s_cselect_b32 s6, 8, s16
	v_mov_b32_e32 v2, s6
	v_mov_b32_e32 v3, s3
	flat_load_dwordx2 v[16:17], v[2:3]
	s_and_b64 vcc, exec, s[4:5]
	v_mov_b64_e32 v[12:13], s[18:19]
	s_cbranch_vccnz .LBB22_6
; %bb.5:
	v_mov_b64_e32 v[2:3], s[16:17]
	flat_load_dwordx2 v[12:13], v[2:3] offset:8
.LBB22_6:
	s_lshl_b32 s2, s2, 3
	v_lshrrev_b32_e32 v1, 5, v0
	s_and_b32 s2, s2, 0x7fffff8
	v_or_b32_e32 v2, s2, v1
	v_mov_b32_e32 v3, 0
	v_cmp_gt_i64_e32 vcc, s[8:9], v[2:3]
	s_and_saveexec_b64 s[2:3], vcc
	s_cbranch_execz .LBB22_35
; %bb.7:
	s_load_dwordx4 s[4:7], s[0:1], 0x20
	s_load_dwordx8 s[12:19], s[0:1], 0x48
	s_load_dwordx2 s[2:3], s[0:1], 0x30
	v_lshlrev_b32_e32 v1, 3, v2
	v_mov_b64_e32 v[22:23], s[10:11]
	s_waitcnt lgkmcnt(0)
	global_load_dwordx4 v[2:5], v1, s[4:5]
	global_load_dwordx4 v[6:9], v1, s[12:13]
	global_load_dwordx2 v[20:21], v1, s[18:19]
	s_waitcnt vmcnt(0)
	v_subrev_co_u32_e32 v18, vcc, s20, v2
	s_nop 1
	v_subbrev_co_u32_e32 v19, vcc, 0, v3, vcc
	v_cmp_lt_i64_e32 vcc, v[2:3], v[4:5]
	s_and_saveexec_b64 s[4:5], vcc
	s_cbranch_execz .LBB22_9
; %bb.8:
	v_lshl_add_u64 v[2:3], v[18:19], 3, s[6:7]
	global_load_dwordx2 v[2:3], v[2:3], off
	s_waitcnt vmcnt(0)
	v_subrev_co_u32_e32 v22, vcc, s20, v2
	s_nop 1
	v_subbrev_co_u32_e32 v23, vcc, 0, v3, vcc
.LBB22_9:
	s_or_b64 exec, exec, s[4:5]
	s_load_dwordx4 s[24:27], s[0:1], 0x68
	v_subrev_co_u32_e32 v24, vcc, s21, v6
	s_mov_b32 s33, s21
	s_nop 0
	v_subbrev_co_u32_e32 v25, vcc, 0, v7, vcc
	v_cmp_lt_i64_e32 vcc, v[6:7], v[8:9]
	v_mov_b64_e32 v[26:27], s[10:11]
	s_and_saveexec_b64 s[0:1], vcc
	s_cbranch_execz .LBB22_11
; %bb.10:
	v_lshl_add_u64 v[2:3], v[24:25], 3, s[14:15]
	global_load_dwordx2 v[2:3], v[2:3], off
	s_waitcnt vmcnt(0)
	v_subrev_co_u32_e32 v26, vcc, s33, v2
	s_nop 1
	v_subbrev_co_u32_e32 v27, vcc, 0, v3, vcc
.LBB22_11:
	s_or_b64 exec, exec, s[0:1]
	v_subrev_co_u32_e32 v2, vcc, s20, v4
	v_and_b32_e32 v1, 0xe0, v0
	s_nop 0
	v_subbrev_co_u32_e32 v3, vcc, 0, v5, vcc
	v_subrev_co_u32_e32 v4, vcc, s33, v8
	v_or_b32_e32 v34, 0x1000, v1
	s_nop 0
	v_subbrev_co_u32_e32 v5, vcc, 0, v9, vcc
	v_lshlrev_b32_e32 v35, 4, v1
	v_subrev_co_u32_e32 v6, vcc, s22, v20
	v_and_b32_e32 v8, 31, v0
	v_mov_b32_e32 v9, 0
	v_mbcnt_lo_u32_b32 v1, -1, 0
	v_subbrev_co_u32_e32 v7, vcc, 0, v21, vcc
	v_lshl_add_u64 v[20:21], v[24:25], 0, v[8:9]
	v_mbcnt_hi_u32_b32 v24, -1, v1
	v_cmp_lt_i64_e32 vcc, v[26:27], v[22:23]
	v_and_b32_e32 v1, 64, v24
	v_add_u32_e32 v25, 64, v1
	v_cndmask_b32_e32 v22, v22, v26, vcc
	v_xor_b32_e32 v26, 16, v24
	v_cndmask_b32_e32 v23, v23, v27, vcc
	v_cmp_lt_i32_e32 vcc, v26, v25
	s_add_u32 s2, s2, 8
	s_addc_u32 s3, s3, 0
	v_cndmask_b32_e32 v26, v24, v26, vcc
	v_lshlrev_b32_e32 v38, 2, v26
	v_xor_b32_e32 v26, 8, v24
	v_cmp_lt_i32_e32 vcc, v26, v25
	s_mov_b32 s23, 0
	v_bitop3_b32 v0, v0, 31, v0 bitop3:0xc
	v_cndmask_b32_e32 v26, v24, v26, vcc
	v_lshlrev_b32_e32 v39, 2, v26
	v_xor_b32_e32 v26, 4, v24
	v_cmp_lt_i32_e32 vcc, v26, v25
	s_add_u32 s4, s16, 8
	v_lshl_add_u64 v[18:19], v[18:19], 0, v[8:9]
	v_cndmask_b32_e32 v26, v24, v26, vcc
	v_lshlrev_b32_e32 v40, 2, v26
	v_xor_b32_e32 v26, 2, v24
	v_cmp_lt_i32_e32 vcc, v26, v25
	v_lshl_or_b32 v36, v8, 4, v35
	v_lshrrev_b32_e64 v37, v0, -1
	v_cndmask_b32_e32 v26, v24, v26, vcc
	v_lshlrev_b32_e32 v41, 2, v26
	v_xor_b32_e32 v26, 1, v24
	v_cmp_lt_i32_e32 vcc, v26, v25
	v_lshl_add_u64 v[0:1], s[22:23], 0, v[8:9]
	s_addc_u32 s5, s17, 0
	v_cndmask_b32_e32 v24, v24, v26, vcc
	v_lshlrev_b32_e32 v42, 2, v24
	s_mov_b64 s[8:9], 0
	v_add_u32_e32 v43, v34, v8
	v_mov_b32_e32 v46, v9
	v_mov_b32_e32 v47, v9
	;; [unrolled: 1-line block ×5, first 2 shown]
	s_mov_b64 s[12:13], 0x100
	s_mov_b64 s[16:17], 0x200
	s_branch .LBB22_13
.LBB22_12:                              ;   in Loop: Header=BB22_13 Depth=1
	s_or_b64 exec, exec, s[18:19]
	ds_bpermute_b32 v22, v38, v24
	ds_bpermute_b32 v23, v38, v25
	s_bcnt1_i32_b64 s22, vcc
	v_lshl_add_u64 v[6:7], s[22:23], 0, v[6:7]
	s_waitcnt lgkmcnt(0)
	v_cmp_lt_i64_e64 s[0:1], v[22:23], v[24:25]
	s_nop 1
	v_cndmask_b32_e64 v23, v25, v23, s[0:1]
	v_cndmask_b32_e64 v22, v24, v22, s[0:1]
	ds_bpermute_b32 v25, v39, v23
	ds_bpermute_b32 v24, v39, v22
	s_waitcnt lgkmcnt(0)
	v_cmp_lt_i64_e64 s[0:1], v[24:25], v[22:23]
	s_nop 1
	v_cndmask_b32_e64 v23, v23, v25, s[0:1]
	v_cndmask_b32_e64 v22, v22, v24, s[0:1]
	ds_bpermute_b32 v25, v40, v23
	ds_bpermute_b32 v24, v40, v22
	;; [unrolled: 7-line block ×4, first 2 shown]
	s_waitcnt lgkmcnt(0)
	v_cmp_lt_i64_e32 vcc, v[24:25], v[22:23]
	s_nop 1
	v_cndmask_b32_e32 v23, v23, v25, vcc
	v_cndmask_b32_e32 v22, v22, v24, vcc
	v_cmp_le_i64_e32 vcc, s[10:11], v[22:23]
	s_or_b64 s[8:9], vcc, s[8:9]
	s_andn2_b64 exec, exec, s[8:9]
	s_cbranch_execz .LBB22_35
.LBB22_13:                              ; =>This Loop Header: Depth=1
                                        ;     Child Loop BB22_16 Depth 2
                                        ;     Child Loop BB22_26 Depth 2
	v_cmp_lt_i64_e32 vcc, v[18:19], v[2:3]
	v_mov_b64_e32 v[24:25], s[10:11]
	ds_write_b8 v43, v9
	ds_write_b128 v36, v[46:49]
	s_waitcnt lgkmcnt(0)
	s_and_saveexec_b64 s[18:19], vcc
	s_cbranch_execz .LBB22_23
; %bb.14:                               ;   in Loop: Header=BB22_13 Depth=1
	v_lshl_add_u64 v[26:27], v[18:19], 3, s[6:7]
	v_lshl_add_u64 v[28:29], v[18:19], 4, s[2:3]
	s_mov_b64 s[28:29], 0
	v_mov_b64_e32 v[24:25], s[10:11]
	s_branch .LBB22_16
.LBB22_15:                              ;   in Loop: Header=BB22_16 Depth=2
	s_or_b64 exec, exec, s[30:31]
	s_and_b64 s[0:1], exec, s[0:1]
	s_or_b64 s[28:29], s[0:1], s[28:29]
	s_andn2_b64 exec, exec, s[28:29]
	s_cbranch_execz .LBB22_22
.LBB22_16:                              ;   Parent Loop BB22_13 Depth=1
                                        ; =>  This Inner Loop Header: Depth=2
	global_load_dwordx2 v[30:31], v[26:27], off
	s_waitcnt vmcnt(0)
	v_subrev_co_u32_e32 v32, vcc, s20, v30
	s_nop 1
	v_subbrev_co_u32_e32 v33, vcc, 0, v31, vcc
	v_sub_co_u32_e32 v30, vcc, v32, v22
	s_nop 1
	v_subb_co_u32_e32 v31, vcc, v33, v23, vcc
	v_cmp_gt_i64_e32 vcc, 32, v[30:31]
	v_cmp_lt_i64_e64 s[0:1], 31, v[30:31]
	s_and_saveexec_b64 s[30:31], s[0:1]
	s_xor_b64 s[30:31], exec, s[30:31]
	s_cbranch_execnz .LBB22_19
; %bb.17:                               ;   in Loop: Header=BB22_16 Depth=2
	s_andn2_saveexec_b64 s[0:1], s[30:31]
	s_cbranch_execnz .LBB22_20
.LBB22_18:                              ;   in Loop: Header=BB22_16 Depth=2
	s_or_b64 exec, exec, s[0:1]
	s_mov_b64 s[0:1], -1
	s_and_saveexec_b64 s[30:31], vcc
	s_cbranch_execz .LBB22_15
	s_branch .LBB22_21
.LBB22_19:                              ;   in Loop: Header=BB22_16 Depth=2
	v_cmp_lt_i64_e64 s[0:1], v[32:33], v[24:25]
                                        ; implicit-def: $vgpr30
	s_nop 1
	v_cndmask_b32_e64 v25, v25, v33, s[0:1]
	v_cndmask_b32_e64 v24, v24, v32, s[0:1]
	s_andn2_saveexec_b64 s[0:1], s[30:31]
	s_cbranch_execz .LBB22_18
.LBB22_20:                              ;   in Loop: Header=BB22_16 Depth=2
	global_load_dwordx4 v[50:53], v[28:29], off offset:-8
	v_add_u32_e32 v8, v34, v30
	ds_write_b8 v8, v44
	v_lshl_add_u32 v8, v30, 4, v35
	s_waitcnt vmcnt(0)
	v_mul_f64 v[54:55], v[52:53], -v[14:15]
	v_mul_f64 v[56:57], v[10:11], v[52:53]
	v_fmac_f64_e32 v[54:55], v[10:11], v[50:51]
	v_fmac_f64_e32 v[56:57], v[14:15], v[50:51]
	ds_write_b128 v8, v[54:57]
	s_or_b64 exec, exec, s[0:1]
	s_mov_b64 s[0:1], -1
	s_and_saveexec_b64 s[30:31], vcc
	s_cbranch_execz .LBB22_15
.LBB22_21:                              ;   in Loop: Header=BB22_16 Depth=2
	v_lshl_add_u64 v[18:19], v[18:19], 0, 32
	v_cmp_ge_i64_e32 vcc, v[18:19], v[2:3]
	v_lshl_add_u64 v[26:27], v[26:27], 0, s[12:13]
	v_lshl_add_u64 v[28:29], v[28:29], 0, s[16:17]
	s_orn2_b64 s[0:1], vcc, exec
	s_branch .LBB22_15
.LBB22_22:                              ;   in Loop: Header=BB22_13 Depth=1
	s_or_b64 exec, exec, s[28:29]
.LBB22_23:                              ;   in Loop: Header=BB22_13 Depth=1
	s_or_b64 exec, exec, s[18:19]
	v_cmp_lt_i64_e32 vcc, v[20:21], v[4:5]
	s_waitcnt lgkmcnt(0)
	s_and_saveexec_b64 s[18:19], vcc
	s_cbranch_execz .LBB22_33
; %bb.24:                               ;   in Loop: Header=BB22_13 Depth=1
	v_lshl_add_u64 v[26:27], v[20:21], 3, s[14:15]
	v_lshl_add_u64 v[28:29], v[20:21], 4, s[4:5]
	s_mov_b64 s[28:29], 0
	s_branch .LBB22_26
.LBB22_25:                              ;   in Loop: Header=BB22_26 Depth=2
	s_or_b64 exec, exec, s[30:31]
	s_and_b64 s[0:1], exec, s[0:1]
	s_or_b64 s[28:29], s[0:1], s[28:29]
	s_andn2_b64 exec, exec, s[28:29]
	s_cbranch_execz .LBB22_32
.LBB22_26:                              ;   Parent Loop BB22_13 Depth=1
                                        ; =>  This Inner Loop Header: Depth=2
	global_load_dwordx2 v[30:31], v[26:27], off
	s_waitcnt vmcnt(0)
	v_subrev_co_u32_e32 v32, vcc, s33, v30
	s_nop 1
	v_subbrev_co_u32_e32 v33, vcc, 0, v31, vcc
	v_sub_co_u32_e32 v30, vcc, v32, v22
	s_nop 1
	v_subb_co_u32_e32 v31, vcc, v33, v23, vcc
	v_cmp_gt_i64_e32 vcc, 32, v[30:31]
	v_cmp_lt_i64_e64 s[0:1], 31, v[30:31]
	s_and_saveexec_b64 s[30:31], s[0:1]
	s_xor_b64 s[30:31], exec, s[30:31]
	s_cbranch_execnz .LBB22_29
; %bb.27:                               ;   in Loop: Header=BB22_26 Depth=2
	s_andn2_saveexec_b64 s[0:1], s[30:31]
	s_cbranch_execnz .LBB22_30
.LBB22_28:                              ;   in Loop: Header=BB22_26 Depth=2
	s_or_b64 exec, exec, s[0:1]
	s_mov_b64 s[0:1], -1
	s_and_saveexec_b64 s[30:31], vcc
	s_cbranch_execz .LBB22_25
	s_branch .LBB22_31
.LBB22_29:                              ;   in Loop: Header=BB22_26 Depth=2
	v_cmp_lt_i64_e64 s[0:1], v[32:33], v[24:25]
                                        ; implicit-def: $vgpr30
	s_nop 1
	v_cndmask_b32_e64 v25, v25, v33, s[0:1]
	v_cndmask_b32_e64 v24, v24, v32, s[0:1]
	s_andn2_saveexec_b64 s[0:1], s[30:31]
	s_cbranch_execz .LBB22_28
.LBB22_30:                              ;   in Loop: Header=BB22_26 Depth=2
	global_load_dwordx4 v[50:53], v[28:29], off offset:-8
	v_lshl_add_u32 v8, v30, 4, v35
	ds_read_b128 v[54:57], v8
	v_add_u32_e32 v30, v34, v30
	ds_write_b8 v30, v44
	s_waitcnt vmcnt(0) lgkmcnt(1)
	v_fmac_f64_e32 v[54:55], v[16:17], v[50:51]
	v_fmac_f64_e32 v[56:57], v[12:13], v[50:51]
	v_fma_f64 v[54:55], -v[12:13], v[52:53], v[54:55]
	v_fmac_f64_e32 v[56:57], v[16:17], v[52:53]
	ds_write_b128 v8, v[54:57]
	s_or_b64 exec, exec, s[0:1]
	s_mov_b64 s[0:1], -1
	s_and_saveexec_b64 s[30:31], vcc
	s_cbranch_execz .LBB22_25
.LBB22_31:                              ;   in Loop: Header=BB22_26 Depth=2
	v_lshl_add_u64 v[20:21], v[20:21], 0, 32
	v_cmp_ge_i64_e32 vcc, v[20:21], v[4:5]
	v_lshl_add_u64 v[26:27], v[26:27], 0, s[12:13]
	v_lshl_add_u64 v[28:29], v[28:29], 0, s[16:17]
	s_orn2_b64 s[0:1], vcc, exec
	s_branch .LBB22_25
.LBB22_32:                              ;   in Loop: Header=BB22_13 Depth=1
	s_or_b64 exec, exec, s[28:29]
.LBB22_33:                              ;   in Loop: Header=BB22_13 Depth=1
	s_or_b64 exec, exec, s[18:19]
	s_waitcnt lgkmcnt(0)
	ds_read_u8 v8, v43
	s_waitcnt lgkmcnt(0)
	v_and_b32_e32 v26, 1, v8
	v_cmp_eq_u32_e64 s[0:1], 1, v26
	v_cmp_ne_u16_e32 vcc, 0, v8
	s_and_saveexec_b64 s[18:19], s[0:1]
	s_cbranch_execz .LBB22_12
; %bb.34:                               ;   in Loop: Header=BB22_13 Depth=1
	v_and_b32_e32 v8, vcc_lo, v37
	ds_read2_b64 v[26:29], v36 offset1:1
	v_bcnt_u32_b32 v8, v8, 0
	v_lshl_add_u64 v[30:31], v[6:7], 0, v[8:9]
	v_lshl_add_u64 v[22:23], v[0:1], 0, v[22:23]
	v_lshl_add_u64 v[32:33], v[30:31], 3, s[24:25]
	global_store_dwordx2 v[32:33], v[22:23], off offset:-8
	v_lshl_add_u64 v[22:23], v[30:31], 4, s[26:27]
	s_waitcnt lgkmcnt(0)
	global_store_dwordx4 v[22:23], v[26:29], off offset:-16
	s_branch .LBB22_12
.LBB22_35:
	s_endpgm
	.section	.rodata,"a",@progbits
	.p2align	6, 0x0
	.amdhsa_kernel _ZN9rocsparseL29csrgeam_fill_multipass_kernelILj256ELj32Ell21rocsparse_complex_numIdEEEvllNS_24const_host_device_scalarIT3_EEPKT1_PKT2_PKS4_S5_S8_SB_SD_S8_PS9_PS4_21rocsparse_index_base_SG_SG_bbb
		.amdhsa_group_segment_fixed_size 4352
		.amdhsa_private_segment_fixed_size 24
		.amdhsa_kernarg_size 136
		.amdhsa_user_sgpr_count 2
		.amdhsa_user_sgpr_dispatch_ptr 0
		.amdhsa_user_sgpr_queue_ptr 0
		.amdhsa_user_sgpr_kernarg_segment_ptr 1
		.amdhsa_user_sgpr_dispatch_id 0
		.amdhsa_user_sgpr_kernarg_preload_length 0
		.amdhsa_user_sgpr_kernarg_preload_offset 0
		.amdhsa_user_sgpr_private_segment_size 0
		.amdhsa_uses_dynamic_stack 0
		.amdhsa_enable_private_segment 1
		.amdhsa_system_sgpr_workgroup_id_x 1
		.amdhsa_system_sgpr_workgroup_id_y 0
		.amdhsa_system_sgpr_workgroup_id_z 0
		.amdhsa_system_sgpr_workgroup_info 0
		.amdhsa_system_vgpr_workitem_id 0
		.amdhsa_next_free_vgpr 58
		.amdhsa_next_free_sgpr 34
		.amdhsa_accum_offset 60
		.amdhsa_reserve_vcc 1
		.amdhsa_float_round_mode_32 0
		.amdhsa_float_round_mode_16_64 0
		.amdhsa_float_denorm_mode_32 3
		.amdhsa_float_denorm_mode_16_64 3
		.amdhsa_dx10_clamp 1
		.amdhsa_ieee_mode 1
		.amdhsa_fp16_overflow 0
		.amdhsa_tg_split 0
		.amdhsa_exception_fp_ieee_invalid_op 0
		.amdhsa_exception_fp_denorm_src 0
		.amdhsa_exception_fp_ieee_div_zero 0
		.amdhsa_exception_fp_ieee_overflow 0
		.amdhsa_exception_fp_ieee_underflow 0
		.amdhsa_exception_fp_ieee_inexact 0
		.amdhsa_exception_int_div_zero 0
	.end_amdhsa_kernel
	.section	.text._ZN9rocsparseL29csrgeam_fill_multipass_kernelILj256ELj32Ell21rocsparse_complex_numIdEEEvllNS_24const_host_device_scalarIT3_EEPKT1_PKT2_PKS4_S5_S8_SB_SD_S8_PS9_PS4_21rocsparse_index_base_SG_SG_bbb,"axG",@progbits,_ZN9rocsparseL29csrgeam_fill_multipass_kernelILj256ELj32Ell21rocsparse_complex_numIdEEEvllNS_24const_host_device_scalarIT3_EEPKT1_PKT2_PKS4_S5_S8_SB_SD_S8_PS9_PS4_21rocsparse_index_base_SG_SG_bbb,comdat
.Lfunc_end22:
	.size	_ZN9rocsparseL29csrgeam_fill_multipass_kernelILj256ELj32Ell21rocsparse_complex_numIdEEEvllNS_24const_host_device_scalarIT3_EEPKT1_PKT2_PKS4_S5_S8_SB_SD_S8_PS9_PS4_21rocsparse_index_base_SG_SG_bbb, .Lfunc_end22-_ZN9rocsparseL29csrgeam_fill_multipass_kernelILj256ELj32Ell21rocsparse_complex_numIdEEEvllNS_24const_host_device_scalarIT3_EEPKT1_PKT2_PKS4_S5_S8_SB_SD_S8_PS9_PS4_21rocsparse_index_base_SG_SG_bbb
                                        ; -- End function
	.set _ZN9rocsparseL29csrgeam_fill_multipass_kernelILj256ELj32Ell21rocsparse_complex_numIdEEEvllNS_24const_host_device_scalarIT3_EEPKT1_PKT2_PKS4_S5_S8_SB_SD_S8_PS9_PS4_21rocsparse_index_base_SG_SG_bbb.num_vgpr, 58
	.set _ZN9rocsparseL29csrgeam_fill_multipass_kernelILj256ELj32Ell21rocsparse_complex_numIdEEEvllNS_24const_host_device_scalarIT3_EEPKT1_PKT2_PKS4_S5_S8_SB_SD_S8_PS9_PS4_21rocsparse_index_base_SG_SG_bbb.num_agpr, 0
	.set _ZN9rocsparseL29csrgeam_fill_multipass_kernelILj256ELj32Ell21rocsparse_complex_numIdEEEvllNS_24const_host_device_scalarIT3_EEPKT1_PKT2_PKS4_S5_S8_SB_SD_S8_PS9_PS4_21rocsparse_index_base_SG_SG_bbb.numbered_sgpr, 34
	.set _ZN9rocsparseL29csrgeam_fill_multipass_kernelILj256ELj32Ell21rocsparse_complex_numIdEEEvllNS_24const_host_device_scalarIT3_EEPKT1_PKT2_PKS4_S5_S8_SB_SD_S8_PS9_PS4_21rocsparse_index_base_SG_SG_bbb.num_named_barrier, 0
	.set _ZN9rocsparseL29csrgeam_fill_multipass_kernelILj256ELj32Ell21rocsparse_complex_numIdEEEvllNS_24const_host_device_scalarIT3_EEPKT1_PKT2_PKS4_S5_S8_SB_SD_S8_PS9_PS4_21rocsparse_index_base_SG_SG_bbb.private_seg_size, 24
	.set _ZN9rocsparseL29csrgeam_fill_multipass_kernelILj256ELj32Ell21rocsparse_complex_numIdEEEvllNS_24const_host_device_scalarIT3_EEPKT1_PKT2_PKS4_S5_S8_SB_SD_S8_PS9_PS4_21rocsparse_index_base_SG_SG_bbb.uses_vcc, 1
	.set _ZN9rocsparseL29csrgeam_fill_multipass_kernelILj256ELj32Ell21rocsparse_complex_numIdEEEvllNS_24const_host_device_scalarIT3_EEPKT1_PKT2_PKS4_S5_S8_SB_SD_S8_PS9_PS4_21rocsparse_index_base_SG_SG_bbb.uses_flat_scratch, 0
	.set _ZN9rocsparseL29csrgeam_fill_multipass_kernelILj256ELj32Ell21rocsparse_complex_numIdEEEvllNS_24const_host_device_scalarIT3_EEPKT1_PKT2_PKS4_S5_S8_SB_SD_S8_PS9_PS4_21rocsparse_index_base_SG_SG_bbb.has_dyn_sized_stack, 0
	.set _ZN9rocsparseL29csrgeam_fill_multipass_kernelILj256ELj32Ell21rocsparse_complex_numIdEEEvllNS_24const_host_device_scalarIT3_EEPKT1_PKT2_PKS4_S5_S8_SB_SD_S8_PS9_PS4_21rocsparse_index_base_SG_SG_bbb.has_recursion, 0
	.set _ZN9rocsparseL29csrgeam_fill_multipass_kernelILj256ELj32Ell21rocsparse_complex_numIdEEEvllNS_24const_host_device_scalarIT3_EEPKT1_PKT2_PKS4_S5_S8_SB_SD_S8_PS9_PS4_21rocsparse_index_base_SG_SG_bbb.has_indirect_call, 0
	.section	.AMDGPU.csdata,"",@progbits
; Kernel info:
; codeLenInByte = 1792
; TotalNumSgprs: 40
; NumVgprs: 58
; NumAgprs: 0
; TotalNumVgprs: 58
; ScratchSize: 24
; MemoryBound: 0
; FloatMode: 240
; IeeeMode: 1
; LDSByteSize: 4352 bytes/workgroup (compile time only)
; SGPRBlocks: 4
; VGPRBlocks: 7
; NumSGPRsForWavesPerEU: 40
; NumVGPRsForWavesPerEU: 58
; AccumOffset: 60
; Occupancy: 8
; WaveLimiterHint : 1
; COMPUTE_PGM_RSRC2:SCRATCH_EN: 1
; COMPUTE_PGM_RSRC2:USER_SGPR: 2
; COMPUTE_PGM_RSRC2:TRAP_HANDLER: 0
; COMPUTE_PGM_RSRC2:TGID_X_EN: 1
; COMPUTE_PGM_RSRC2:TGID_Y_EN: 0
; COMPUTE_PGM_RSRC2:TGID_Z_EN: 0
; COMPUTE_PGM_RSRC2:TIDIG_COMP_CNT: 0
; COMPUTE_PGM_RSRC3_GFX90A:ACCUM_OFFSET: 14
; COMPUTE_PGM_RSRC3_GFX90A:TG_SPLIT: 0
	.section	.text._ZN9rocsparseL29csrgeam_fill_multipass_kernelILj256ELj64Ell21rocsparse_complex_numIdEEEvllNS_24const_host_device_scalarIT3_EEPKT1_PKT2_PKS4_S5_S8_SB_SD_S8_PS9_PS4_21rocsparse_index_base_SG_SG_bbb,"axG",@progbits,_ZN9rocsparseL29csrgeam_fill_multipass_kernelILj256ELj64Ell21rocsparse_complex_numIdEEEvllNS_24const_host_device_scalarIT3_EEPKT1_PKT2_PKS4_S5_S8_SB_SD_S8_PS9_PS4_21rocsparse_index_base_SG_SG_bbb,comdat
	.globl	_ZN9rocsparseL29csrgeam_fill_multipass_kernelILj256ELj64Ell21rocsparse_complex_numIdEEEvllNS_24const_host_device_scalarIT3_EEPKT1_PKT2_PKS4_S5_S8_SB_SD_S8_PS9_PS4_21rocsparse_index_base_SG_SG_bbb ; -- Begin function _ZN9rocsparseL29csrgeam_fill_multipass_kernelILj256ELj64Ell21rocsparse_complex_numIdEEEvllNS_24const_host_device_scalarIT3_EEPKT1_PKT2_PKS4_S5_S8_SB_SD_S8_PS9_PS4_21rocsparse_index_base_SG_SG_bbb
	.p2align	8
	.type	_ZN9rocsparseL29csrgeam_fill_multipass_kernelILj256ELj64Ell21rocsparse_complex_numIdEEEvllNS_24const_host_device_scalarIT3_EEPKT1_PKT2_PKS4_S5_S8_SB_SD_S8_PS9_PS4_21rocsparse_index_base_SG_SG_bbb,@function
_ZN9rocsparseL29csrgeam_fill_multipass_kernelILj256ELj64Ell21rocsparse_complex_numIdEEEvllNS_24const_host_device_scalarIT3_EEPKT1_PKT2_PKS4_S5_S8_SB_SD_S8_PS9_PS4_21rocsparse_index_base_SG_SG_bbb: ; @_ZN9rocsparseL29csrgeam_fill_multipass_kernelILj256ELj64Ell21rocsparse_complex_numIdEEEvllNS_24const_host_device_scalarIT3_EEPKT1_PKT2_PKS4_S5_S8_SB_SD_S8_PS9_PS4_21rocsparse_index_base_SG_SG_bbb
; %bb.0:
	s_load_dword s3, s[0:1], 0x84
	s_load_dwordx8 s[8:15], s[0:1], 0x0
	s_load_dwordx4 s[16:19], s[0:1], 0x38
	s_load_dwordx4 s[20:23], s[0:1], 0x78
	v_mov_b64_e32 v[12:13], 0
	s_waitcnt lgkmcnt(0)
	s_bitcmp1_b32 s3, 16
	s_cselect_b64 s[6:7], -1, 0
	s_xor_b64 s[4:5], s[6:7], -1
	v_mov_b64_e32 v[2:3], s[12:13]
	v_cndmask_b32_e64 v1, 0, 1, s[4:5]
	scratch_store_dwordx2 off, v[2:3], off
	v_mov_b64_e32 v[2:3], s[16:17]
	s_bitcmp0_b32 s23, 0
	v_cmp_ne_u32_e64 s[4:5], 1, v1
	v_mov_b64_e32 v[10:11], 0
	v_mov_b64_e32 v[14:15], 0
	scratch_store_dwordx2 off, v[2:3], off offset:8
	s_cbranch_scc1 .LBB23_3
; %bb.1:
	s_mov_b64 s[24:25], src_private_base
	s_and_b64 s[26:27], s[6:7], exec
	s_cselect_b32 s23, s25, s13
	s_cselect_b32 s24, 0, s12
	v_mov_b32_e32 v2, s24
	v_mov_b32_e32 v3, s23
	flat_load_dwordx2 v[10:11], v[2:3]
	s_and_b64 vcc, exec, s[4:5]
	v_mov_b64_e32 v[14:15], s[14:15]
	s_cbranch_vccnz .LBB23_3
; %bb.2:
	v_mov_b64_e32 v[2:3], s[12:13]
	flat_load_dwordx2 v[14:15], v[2:3] offset:8
.LBB23_3:
	s_bfe_u32 s3, s3, 0x10008
	s_cmp_eq_u32 s3, 0
	v_mov_b64_e32 v[16:17], 0
	s_cbranch_scc1 .LBB23_6
; %bb.4:
	s_mov_b64 s[12:13], src_private_base
	s_and_b64 s[6:7], s[6:7], exec
	s_cselect_b32 s3, s13, s17
	s_cselect_b32 s6, 8, s16
	v_mov_b32_e32 v2, s6
	v_mov_b32_e32 v3, s3
	flat_load_dwordx2 v[16:17], v[2:3]
	s_and_b64 vcc, exec, s[4:5]
	v_mov_b64_e32 v[12:13], s[18:19]
	s_cbranch_vccnz .LBB23_6
; %bb.5:
	v_mov_b64_e32 v[2:3], s[16:17]
	flat_load_dwordx2 v[12:13], v[2:3] offset:8
.LBB23_6:
	s_lshl_b32 s2, s2, 2
	v_lshrrev_b32_e32 v1, 6, v0
	s_and_b32 s2, s2, 0x3fffffc
	v_or_b32_e32 v2, s2, v1
	v_mov_b32_e32 v3, 0
	v_cmp_gt_i64_e32 vcc, s[8:9], v[2:3]
	s_and_saveexec_b64 s[2:3], vcc
	s_cbranch_execz .LBB23_35
; %bb.7:
	s_load_dwordx4 s[4:7], s[0:1], 0x20
	s_load_dwordx8 s[12:19], s[0:1], 0x48
	s_load_dwordx2 s[2:3], s[0:1], 0x30
	v_lshlrev_b32_e32 v1, 3, v2
	v_mov_b64_e32 v[22:23], s[10:11]
	s_waitcnt lgkmcnt(0)
	global_load_dwordx4 v[2:5], v1, s[4:5]
	global_load_dwordx4 v[6:9], v1, s[12:13]
	global_load_dwordx2 v[20:21], v1, s[18:19]
	s_waitcnt vmcnt(0)
	v_subrev_co_u32_e32 v18, vcc, s20, v2
	s_nop 1
	v_subbrev_co_u32_e32 v19, vcc, 0, v3, vcc
	v_cmp_lt_i64_e32 vcc, v[2:3], v[4:5]
	s_and_saveexec_b64 s[4:5], vcc
	s_cbranch_execz .LBB23_9
; %bb.8:
	v_lshl_add_u64 v[2:3], v[18:19], 3, s[6:7]
	global_load_dwordx2 v[2:3], v[2:3], off
	s_waitcnt vmcnt(0)
	v_subrev_co_u32_e32 v22, vcc, s20, v2
	s_nop 1
	v_subbrev_co_u32_e32 v23, vcc, 0, v3, vcc
.LBB23_9:
	s_or_b64 exec, exec, s[4:5]
	s_load_dwordx4 s[24:27], s[0:1], 0x68
	v_subrev_co_u32_e32 v26, vcc, s21, v6
	s_mov_b32 s33, s21
	s_nop 0
	v_subbrev_co_u32_e32 v27, vcc, 0, v7, vcc
	v_cmp_lt_i64_e32 vcc, v[6:7], v[8:9]
	v_mov_b64_e32 v[24:25], s[10:11]
	s_and_saveexec_b64 s[0:1], vcc
	s_cbranch_execz .LBB23_11
; %bb.10:
	v_lshl_add_u64 v[2:3], v[26:27], 3, s[14:15]
	global_load_dwordx2 v[2:3], v[2:3], off
	s_waitcnt vmcnt(0)
	v_subrev_co_u32_e32 v24, vcc, s33, v2
	s_nop 1
	v_subbrev_co_u32_e32 v25, vcc, 0, v3, vcc
.LBB23_11:
	s_or_b64 exec, exec, s[0:1]
	v_subrev_co_u32_e32 v2, vcc, s20, v4
	v_and_b32_e32 v1, 0xc0, v0
	s_nop 0
	v_subbrev_co_u32_e32 v3, vcc, 0, v5, vcc
	v_subrev_co_u32_e32 v4, vcc, s33, v8
	v_or_b32_e32 v36, 0x1000, v1
	s_nop 0
	v_subbrev_co_u32_e32 v5, vcc, 0, v9, vcc
	v_lshlrev_b32_e32 v37, 4, v1
	v_subrev_co_u32_e32 v6, vcc, s22, v20
	v_and_b32_e32 v8, 63, v0
	v_mov_b32_e32 v9, 0
	v_mbcnt_lo_u32_b32 v1, -1, 0
	v_subbrev_co_u32_e32 v7, vcc, 0, v21, vcc
	v_lshl_add_u64 v[20:21], v[26:27], 0, v[8:9]
	v_mbcnt_hi_u32_b32 v26, -1, v1
	v_and_b32_e32 v1, 64, v26
	v_cmp_lt_i64_e32 vcc, v[24:25], v[22:23]
	v_add_u32_e32 v27, 64, v1
	v_xor_b32_e32 v28, 32, v26
	v_cndmask_b32_e32 v25, v23, v25, vcc
	v_cndmask_b32_e32 v24, v22, v24, vcc
	v_cmp_lt_i32_e32 vcc, v28, v27
	s_add_u32 s2, s2, 8
	s_addc_u32 s3, s3, 0
	v_cndmask_b32_e32 v28, v26, v28, vcc
	v_lshlrev_b32_e32 v39, 2, v28
	v_xor_b32_e32 v28, 16, v26
	v_cmp_lt_i32_e32 vcc, v28, v27
	s_mov_b32 s23, 0
	v_bitop3_b32 v0, v0, 63, v0 bitop3:0xc
	v_cndmask_b32_e32 v28, v26, v28, vcc
	v_lshlrev_b32_e32 v40, 2, v28
	v_xor_b32_e32 v28, 8, v26
	v_cmp_lt_i32_e32 vcc, v28, v27
	s_add_u32 s4, s16, 8
	v_lshl_add_u64 v[18:19], v[18:19], 0, v[8:9]
	v_cndmask_b32_e32 v28, v26, v28, vcc
	v_lshlrev_b32_e32 v41, 2, v28
	v_xor_b32_e32 v28, 4, v26
	v_cmp_lt_i32_e32 vcc, v28, v27
	v_lshl_or_b32 v38, v8, 4, v37
	v_lshrrev_b64 v[0:1], v0, -1
	v_cndmask_b32_e32 v28, v26, v28, vcc
	v_lshlrev_b32_e32 v42, 2, v28
	v_xor_b32_e32 v28, 2, v26
	v_cmp_lt_i32_e32 vcc, v28, v27
	v_lshl_add_u64 v[22:23], s[22:23], 0, v[8:9]
	s_addc_u32 s5, s17, 0
	v_cndmask_b32_e32 v28, v26, v28, vcc
	v_lshlrev_b32_e32 v43, 2, v28
	v_xor_b32_e32 v28, 1, v26
	v_cmp_lt_i32_e32 vcc, v28, v27
	s_mov_b64 s[8:9], 0
	v_add_u32_e32 v45, v36, v8
	v_cndmask_b32_e32 v26, v26, v28, vcc
	v_lshlrev_b32_e32 v44, 2, v26
	v_mov_b32_e32 v48, v9
	v_mov_b32_e32 v49, v9
	;; [unrolled: 1-line block ×5, first 2 shown]
	s_mov_b64 s[12:13], 0x200
	s_mov_b64 s[16:17], 0x400
	s_branch .LBB23_13
.LBB23_12:                              ;   in Loop: Header=BB23_13 Depth=1
	s_or_b64 exec, exec, s[18:19]
	ds_bpermute_b32 v24, v39, v26
	ds_bpermute_b32 v25, v39, v27
	s_bcnt1_i32_b64 s22, vcc
	v_lshl_add_u64 v[6:7], s[22:23], 0, v[6:7]
	s_waitcnt lgkmcnt(0)
	v_cmp_lt_i64_e64 s[0:1], v[24:25], v[26:27]
	s_nop 1
	v_cndmask_b32_e64 v25, v27, v25, s[0:1]
	v_cndmask_b32_e64 v24, v26, v24, s[0:1]
	ds_bpermute_b32 v27, v40, v25
	ds_bpermute_b32 v26, v40, v24
	s_waitcnt lgkmcnt(0)
	v_cmp_lt_i64_e64 s[0:1], v[26:27], v[24:25]
	s_nop 1
	v_cndmask_b32_e64 v25, v25, v27, s[0:1]
	v_cndmask_b32_e64 v24, v24, v26, s[0:1]
	ds_bpermute_b32 v27, v41, v25
	ds_bpermute_b32 v26, v41, v24
	;; [unrolled: 7-line block ×5, first 2 shown]
	s_waitcnt lgkmcnt(0)
	v_cmp_lt_i64_e32 vcc, v[26:27], v[24:25]
	s_nop 1
	v_cndmask_b32_e32 v25, v25, v27, vcc
	v_cndmask_b32_e32 v24, v24, v26, vcc
	v_cmp_le_i64_e32 vcc, s[10:11], v[24:25]
	s_or_b64 s[8:9], vcc, s[8:9]
	s_andn2_b64 exec, exec, s[8:9]
	s_cbranch_execz .LBB23_35
.LBB23_13:                              ; =>This Loop Header: Depth=1
                                        ;     Child Loop BB23_16 Depth 2
                                        ;     Child Loop BB23_26 Depth 2
	v_cmp_lt_i64_e32 vcc, v[18:19], v[2:3]
	v_mov_b64_e32 v[26:27], s[10:11]
	ds_write_b8 v45, v9
	ds_write_b128 v38, v[48:51]
	s_waitcnt lgkmcnt(0)
	s_and_saveexec_b64 s[18:19], vcc
	s_cbranch_execz .LBB23_23
; %bb.14:                               ;   in Loop: Header=BB23_13 Depth=1
	v_lshl_add_u64 v[28:29], v[18:19], 3, s[6:7]
	v_lshl_add_u64 v[30:31], v[18:19], 4, s[2:3]
	s_mov_b64 s[28:29], 0
	v_mov_b64_e32 v[26:27], s[10:11]
	s_branch .LBB23_16
.LBB23_15:                              ;   in Loop: Header=BB23_16 Depth=2
	s_or_b64 exec, exec, s[30:31]
	s_and_b64 s[0:1], exec, s[0:1]
	s_or_b64 s[28:29], s[0:1], s[28:29]
	s_andn2_b64 exec, exec, s[28:29]
	s_cbranch_execz .LBB23_22
.LBB23_16:                              ;   Parent Loop BB23_13 Depth=1
                                        ; =>  This Inner Loop Header: Depth=2
	global_load_dwordx2 v[32:33], v[28:29], off
	s_waitcnt vmcnt(0)
	v_subrev_co_u32_e32 v34, vcc, s20, v32
	s_nop 1
	v_subbrev_co_u32_e32 v35, vcc, 0, v33, vcc
	v_sub_co_u32_e32 v32, vcc, v34, v24
	s_nop 1
	v_subb_co_u32_e32 v33, vcc, v35, v25, vcc
	v_cmp_gt_i64_e32 vcc, 64, v[32:33]
	v_cmp_lt_i64_e64 s[0:1], 63, v[32:33]
	s_and_saveexec_b64 s[30:31], s[0:1]
	s_xor_b64 s[30:31], exec, s[30:31]
	s_cbranch_execnz .LBB23_19
; %bb.17:                               ;   in Loop: Header=BB23_16 Depth=2
	s_andn2_saveexec_b64 s[0:1], s[30:31]
	s_cbranch_execnz .LBB23_20
.LBB23_18:                              ;   in Loop: Header=BB23_16 Depth=2
	s_or_b64 exec, exec, s[0:1]
	s_mov_b64 s[0:1], -1
	s_and_saveexec_b64 s[30:31], vcc
	s_cbranch_execz .LBB23_15
	s_branch .LBB23_21
.LBB23_19:                              ;   in Loop: Header=BB23_16 Depth=2
	v_cmp_lt_i64_e64 s[0:1], v[34:35], v[26:27]
                                        ; implicit-def: $vgpr32
	s_nop 1
	v_cndmask_b32_e64 v27, v27, v35, s[0:1]
	v_cndmask_b32_e64 v26, v26, v34, s[0:1]
	s_andn2_saveexec_b64 s[0:1], s[30:31]
	s_cbranch_execz .LBB23_18
.LBB23_20:                              ;   in Loop: Header=BB23_16 Depth=2
	global_load_dwordx4 v[52:55], v[30:31], off offset:-8
	v_add_u32_e32 v8, v36, v32
	ds_write_b8 v8, v46
	v_lshl_add_u32 v8, v32, 4, v37
	s_waitcnt vmcnt(0)
	v_mul_f64 v[56:57], v[54:55], -v[14:15]
	v_mul_f64 v[58:59], v[10:11], v[54:55]
	v_fmac_f64_e32 v[56:57], v[10:11], v[52:53]
	v_fmac_f64_e32 v[58:59], v[14:15], v[52:53]
	ds_write_b128 v8, v[56:59]
	s_or_b64 exec, exec, s[0:1]
	s_mov_b64 s[0:1], -1
	s_and_saveexec_b64 s[30:31], vcc
	s_cbranch_execz .LBB23_15
.LBB23_21:                              ;   in Loop: Header=BB23_16 Depth=2
	v_lshl_add_u64 v[18:19], v[18:19], 0, 64
	v_cmp_ge_i64_e32 vcc, v[18:19], v[2:3]
	v_lshl_add_u64 v[28:29], v[28:29], 0, s[12:13]
	v_lshl_add_u64 v[30:31], v[30:31], 0, s[16:17]
	s_orn2_b64 s[0:1], vcc, exec
	s_branch .LBB23_15
.LBB23_22:                              ;   in Loop: Header=BB23_13 Depth=1
	s_or_b64 exec, exec, s[28:29]
.LBB23_23:                              ;   in Loop: Header=BB23_13 Depth=1
	s_or_b64 exec, exec, s[18:19]
	v_cmp_lt_i64_e32 vcc, v[20:21], v[4:5]
	s_waitcnt lgkmcnt(0)
	s_and_saveexec_b64 s[18:19], vcc
	s_cbranch_execz .LBB23_33
; %bb.24:                               ;   in Loop: Header=BB23_13 Depth=1
	v_lshl_add_u64 v[28:29], v[20:21], 3, s[14:15]
	v_lshl_add_u64 v[30:31], v[20:21], 4, s[4:5]
	s_mov_b64 s[28:29], 0
	s_branch .LBB23_26
.LBB23_25:                              ;   in Loop: Header=BB23_26 Depth=2
	s_or_b64 exec, exec, s[30:31]
	s_and_b64 s[0:1], exec, s[0:1]
	s_or_b64 s[28:29], s[0:1], s[28:29]
	s_andn2_b64 exec, exec, s[28:29]
	s_cbranch_execz .LBB23_32
.LBB23_26:                              ;   Parent Loop BB23_13 Depth=1
                                        ; =>  This Inner Loop Header: Depth=2
	global_load_dwordx2 v[32:33], v[28:29], off
	s_waitcnt vmcnt(0)
	v_subrev_co_u32_e32 v34, vcc, s33, v32
	s_nop 1
	v_subbrev_co_u32_e32 v35, vcc, 0, v33, vcc
	v_sub_co_u32_e32 v32, vcc, v34, v24
	s_nop 1
	v_subb_co_u32_e32 v33, vcc, v35, v25, vcc
	v_cmp_gt_i64_e32 vcc, 64, v[32:33]
	v_cmp_lt_i64_e64 s[0:1], 63, v[32:33]
	s_and_saveexec_b64 s[30:31], s[0:1]
	s_xor_b64 s[30:31], exec, s[30:31]
	s_cbranch_execnz .LBB23_29
; %bb.27:                               ;   in Loop: Header=BB23_26 Depth=2
	s_andn2_saveexec_b64 s[0:1], s[30:31]
	s_cbranch_execnz .LBB23_30
.LBB23_28:                              ;   in Loop: Header=BB23_26 Depth=2
	s_or_b64 exec, exec, s[0:1]
	s_mov_b64 s[0:1], -1
	s_and_saveexec_b64 s[30:31], vcc
	s_cbranch_execz .LBB23_25
	s_branch .LBB23_31
.LBB23_29:                              ;   in Loop: Header=BB23_26 Depth=2
	v_cmp_lt_i64_e64 s[0:1], v[34:35], v[26:27]
                                        ; implicit-def: $vgpr32
	s_nop 1
	v_cndmask_b32_e64 v27, v27, v35, s[0:1]
	v_cndmask_b32_e64 v26, v26, v34, s[0:1]
	s_andn2_saveexec_b64 s[0:1], s[30:31]
	s_cbranch_execz .LBB23_28
.LBB23_30:                              ;   in Loop: Header=BB23_26 Depth=2
	global_load_dwordx4 v[52:55], v[30:31], off offset:-8
	v_lshl_add_u32 v8, v32, 4, v37
	ds_read_b128 v[56:59], v8
	v_add_u32_e32 v32, v36, v32
	ds_write_b8 v32, v46
	s_waitcnt vmcnt(0) lgkmcnt(1)
	v_fmac_f64_e32 v[56:57], v[16:17], v[52:53]
	v_fmac_f64_e32 v[58:59], v[12:13], v[52:53]
	v_fma_f64 v[56:57], -v[12:13], v[54:55], v[56:57]
	v_fmac_f64_e32 v[58:59], v[16:17], v[54:55]
	ds_write_b128 v8, v[56:59]
	s_or_b64 exec, exec, s[0:1]
	s_mov_b64 s[0:1], -1
	s_and_saveexec_b64 s[30:31], vcc
	s_cbranch_execz .LBB23_25
.LBB23_31:                              ;   in Loop: Header=BB23_26 Depth=2
	v_lshl_add_u64 v[20:21], v[20:21], 0, 64
	v_cmp_ge_i64_e32 vcc, v[20:21], v[4:5]
	v_lshl_add_u64 v[28:29], v[28:29], 0, s[12:13]
	v_lshl_add_u64 v[30:31], v[30:31], 0, s[16:17]
	s_orn2_b64 s[0:1], vcc, exec
	s_branch .LBB23_25
.LBB23_32:                              ;   in Loop: Header=BB23_13 Depth=1
	s_or_b64 exec, exec, s[28:29]
.LBB23_33:                              ;   in Loop: Header=BB23_13 Depth=1
	s_or_b64 exec, exec, s[18:19]
	s_waitcnt lgkmcnt(0)
	ds_read_u8 v8, v45
	s_waitcnt lgkmcnt(0)
	v_and_b32_e32 v28, 1, v8
	v_cmp_eq_u32_e64 s[0:1], 1, v28
	v_cmp_ne_u16_e32 vcc, 0, v8
	s_and_saveexec_b64 s[18:19], s[0:1]
	s_cbranch_execz .LBB23_12
; %bb.34:                               ;   in Loop: Header=BB23_13 Depth=1
	v_and_b32_e32 v28, vcc_lo, v0
	v_and_b32_e32 v8, vcc_hi, v1
	v_bcnt_u32_b32 v28, v28, 0
	v_bcnt_u32_b32 v8, v8, v28
	ds_read2_b64 v[28:31], v38 offset1:1
	v_lshl_add_u64 v[32:33], v[6:7], 0, v[8:9]
	v_lshl_add_u64 v[24:25], v[22:23], 0, v[24:25]
	;; [unrolled: 1-line block ×3, first 2 shown]
	global_store_dwordx2 v[34:35], v[24:25], off offset:-8
	v_lshl_add_u64 v[24:25], v[32:33], 4, s[26:27]
	s_waitcnt lgkmcnt(0)
	global_store_dwordx4 v[24:25], v[28:31], off offset:-16
	s_branch .LBB23_12
.LBB23_35:
	s_endpgm
	.section	.rodata,"a",@progbits
	.p2align	6, 0x0
	.amdhsa_kernel _ZN9rocsparseL29csrgeam_fill_multipass_kernelILj256ELj64Ell21rocsparse_complex_numIdEEEvllNS_24const_host_device_scalarIT3_EEPKT1_PKT2_PKS4_S5_S8_SB_SD_S8_PS9_PS4_21rocsparse_index_base_SG_SG_bbb
		.amdhsa_group_segment_fixed_size 4352
		.amdhsa_private_segment_fixed_size 24
		.amdhsa_kernarg_size 136
		.amdhsa_user_sgpr_count 2
		.amdhsa_user_sgpr_dispatch_ptr 0
		.amdhsa_user_sgpr_queue_ptr 0
		.amdhsa_user_sgpr_kernarg_segment_ptr 1
		.amdhsa_user_sgpr_dispatch_id 0
		.amdhsa_user_sgpr_kernarg_preload_length 0
		.amdhsa_user_sgpr_kernarg_preload_offset 0
		.amdhsa_user_sgpr_private_segment_size 0
		.amdhsa_uses_dynamic_stack 0
		.amdhsa_enable_private_segment 1
		.amdhsa_system_sgpr_workgroup_id_x 1
		.amdhsa_system_sgpr_workgroup_id_y 0
		.amdhsa_system_sgpr_workgroup_id_z 0
		.amdhsa_system_sgpr_workgroup_info 0
		.amdhsa_system_vgpr_workitem_id 0
		.amdhsa_next_free_vgpr 60
		.amdhsa_next_free_sgpr 34
		.amdhsa_accum_offset 60
		.amdhsa_reserve_vcc 1
		.amdhsa_float_round_mode_32 0
		.amdhsa_float_round_mode_16_64 0
		.amdhsa_float_denorm_mode_32 3
		.amdhsa_float_denorm_mode_16_64 3
		.amdhsa_dx10_clamp 1
		.amdhsa_ieee_mode 1
		.amdhsa_fp16_overflow 0
		.amdhsa_tg_split 0
		.amdhsa_exception_fp_ieee_invalid_op 0
		.amdhsa_exception_fp_denorm_src 0
		.amdhsa_exception_fp_ieee_div_zero 0
		.amdhsa_exception_fp_ieee_overflow 0
		.amdhsa_exception_fp_ieee_underflow 0
		.amdhsa_exception_fp_ieee_inexact 0
		.amdhsa_exception_int_div_zero 0
	.end_amdhsa_kernel
	.section	.text._ZN9rocsparseL29csrgeam_fill_multipass_kernelILj256ELj64Ell21rocsparse_complex_numIdEEEvllNS_24const_host_device_scalarIT3_EEPKT1_PKT2_PKS4_S5_S8_SB_SD_S8_PS9_PS4_21rocsparse_index_base_SG_SG_bbb,"axG",@progbits,_ZN9rocsparseL29csrgeam_fill_multipass_kernelILj256ELj64Ell21rocsparse_complex_numIdEEEvllNS_24const_host_device_scalarIT3_EEPKT1_PKT2_PKS4_S5_S8_SB_SD_S8_PS9_PS4_21rocsparse_index_base_SG_SG_bbb,comdat
.Lfunc_end23:
	.size	_ZN9rocsparseL29csrgeam_fill_multipass_kernelILj256ELj64Ell21rocsparse_complex_numIdEEEvllNS_24const_host_device_scalarIT3_EEPKT1_PKT2_PKS4_S5_S8_SB_SD_S8_PS9_PS4_21rocsparse_index_base_SG_SG_bbb, .Lfunc_end23-_ZN9rocsparseL29csrgeam_fill_multipass_kernelILj256ELj64Ell21rocsparse_complex_numIdEEEvllNS_24const_host_device_scalarIT3_EEPKT1_PKT2_PKS4_S5_S8_SB_SD_S8_PS9_PS4_21rocsparse_index_base_SG_SG_bbb
                                        ; -- End function
	.set _ZN9rocsparseL29csrgeam_fill_multipass_kernelILj256ELj64Ell21rocsparse_complex_numIdEEEvllNS_24const_host_device_scalarIT3_EEPKT1_PKT2_PKS4_S5_S8_SB_SD_S8_PS9_PS4_21rocsparse_index_base_SG_SG_bbb.num_vgpr, 60
	.set _ZN9rocsparseL29csrgeam_fill_multipass_kernelILj256ELj64Ell21rocsparse_complex_numIdEEEvllNS_24const_host_device_scalarIT3_EEPKT1_PKT2_PKS4_S5_S8_SB_SD_S8_PS9_PS4_21rocsparse_index_base_SG_SG_bbb.num_agpr, 0
	.set _ZN9rocsparseL29csrgeam_fill_multipass_kernelILj256ELj64Ell21rocsparse_complex_numIdEEEvllNS_24const_host_device_scalarIT3_EEPKT1_PKT2_PKS4_S5_S8_SB_SD_S8_PS9_PS4_21rocsparse_index_base_SG_SG_bbb.numbered_sgpr, 34
	.set _ZN9rocsparseL29csrgeam_fill_multipass_kernelILj256ELj64Ell21rocsparse_complex_numIdEEEvllNS_24const_host_device_scalarIT3_EEPKT1_PKT2_PKS4_S5_S8_SB_SD_S8_PS9_PS4_21rocsparse_index_base_SG_SG_bbb.num_named_barrier, 0
	.set _ZN9rocsparseL29csrgeam_fill_multipass_kernelILj256ELj64Ell21rocsparse_complex_numIdEEEvllNS_24const_host_device_scalarIT3_EEPKT1_PKT2_PKS4_S5_S8_SB_SD_S8_PS9_PS4_21rocsparse_index_base_SG_SG_bbb.private_seg_size, 24
	.set _ZN9rocsparseL29csrgeam_fill_multipass_kernelILj256ELj64Ell21rocsparse_complex_numIdEEEvllNS_24const_host_device_scalarIT3_EEPKT1_PKT2_PKS4_S5_S8_SB_SD_S8_PS9_PS4_21rocsparse_index_base_SG_SG_bbb.uses_vcc, 1
	.set _ZN9rocsparseL29csrgeam_fill_multipass_kernelILj256ELj64Ell21rocsparse_complex_numIdEEEvllNS_24const_host_device_scalarIT3_EEPKT1_PKT2_PKS4_S5_S8_SB_SD_S8_PS9_PS4_21rocsparse_index_base_SG_SG_bbb.uses_flat_scratch, 0
	.set _ZN9rocsparseL29csrgeam_fill_multipass_kernelILj256ELj64Ell21rocsparse_complex_numIdEEEvllNS_24const_host_device_scalarIT3_EEPKT1_PKT2_PKS4_S5_S8_SB_SD_S8_PS9_PS4_21rocsparse_index_base_SG_SG_bbb.has_dyn_sized_stack, 0
	.set _ZN9rocsparseL29csrgeam_fill_multipass_kernelILj256ELj64Ell21rocsparse_complex_numIdEEEvllNS_24const_host_device_scalarIT3_EEPKT1_PKT2_PKS4_S5_S8_SB_SD_S8_PS9_PS4_21rocsparse_index_base_SG_SG_bbb.has_recursion, 0
	.set _ZN9rocsparseL29csrgeam_fill_multipass_kernelILj256ELj64Ell21rocsparse_complex_numIdEEEvllNS_24const_host_device_scalarIT3_EEPKT1_PKT2_PKS4_S5_S8_SB_SD_S8_PS9_PS4_21rocsparse_index_base_SG_SG_bbb.has_indirect_call, 0
	.section	.AMDGPU.csdata,"",@progbits
; Kernel info:
; codeLenInByte = 1868
; TotalNumSgprs: 40
; NumVgprs: 60
; NumAgprs: 0
; TotalNumVgprs: 60
; ScratchSize: 24
; MemoryBound: 0
; FloatMode: 240
; IeeeMode: 1
; LDSByteSize: 4352 bytes/workgroup (compile time only)
; SGPRBlocks: 4
; VGPRBlocks: 7
; NumSGPRsForWavesPerEU: 40
; NumVGPRsForWavesPerEU: 60
; AccumOffset: 60
; Occupancy: 8
; WaveLimiterHint : 1
; COMPUTE_PGM_RSRC2:SCRATCH_EN: 1
; COMPUTE_PGM_RSRC2:USER_SGPR: 2
; COMPUTE_PGM_RSRC2:TRAP_HANDLER: 0
; COMPUTE_PGM_RSRC2:TGID_X_EN: 1
; COMPUTE_PGM_RSRC2:TGID_Y_EN: 0
; COMPUTE_PGM_RSRC2:TGID_Z_EN: 0
; COMPUTE_PGM_RSRC2:TIDIG_COMP_CNT: 0
; COMPUTE_PGM_RSRC3_GFX90A:ACCUM_OFFSET: 14
; COMPUTE_PGM_RSRC3_GFX90A:TG_SPLIT: 0
	.section	.AMDGPU.gpr_maximums,"",@progbits
	.set amdgpu.max_num_vgpr, 0
	.set amdgpu.max_num_agpr, 0
	.set amdgpu.max_num_sgpr, 0
	.section	.AMDGPU.csdata,"",@progbits
	.type	__hip_cuid_89a407b187eccbd,@object ; @__hip_cuid_89a407b187eccbd
	.section	.bss,"aw",@nobits
	.globl	__hip_cuid_89a407b187eccbd
__hip_cuid_89a407b187eccbd:
	.byte	0                               ; 0x0
	.size	__hip_cuid_89a407b187eccbd, 1

	.ident	"AMD clang version 22.0.0git (https://github.com/RadeonOpenCompute/llvm-project roc-7.2.4 26084 f58b06dce1f9c15707c5f808fd002e18c2accf7e)"
	.section	".note.GNU-stack","",@progbits
	.addrsig
	.addrsig_sym __hip_cuid_89a407b187eccbd
	.amdgpu_metadata
---
amdhsa.kernels:
  - .agpr_count:     0
    .args:
      - .offset:         0
        .size:           8
        .value_kind:     by_value
      - .offset:         8
        .size:           8
        .value_kind:     by_value
      - .offset:         16
        .size:           8
        .value_kind:     by_value
      - .actual_access:  read_only
        .address_space:  global
        .offset:         24
        .size:           8
        .value_kind:     global_buffer
      - .actual_access:  read_only
        .address_space:  global
        .offset:         32
        .size:           8
        .value_kind:     global_buffer
      - .actual_access:  read_only
        .address_space:  global
        .offset:         40
        .size:           8
        .value_kind:     global_buffer
      - .offset:         48
        .size:           8
        .value_kind:     by_value
      - .actual_access:  read_only
        .address_space:  global
        .offset:         56
        .size:           8
        .value_kind:     global_buffer
      - .actual_access:  read_only
        .address_space:  global
        .offset:         64
        .size:           8
        .value_kind:     global_buffer
      - .actual_access:  read_only
        .address_space:  global
        .offset:         72
        .size:           8
        .value_kind:     global_buffer
      - .actual_access:  read_only
        .address_space:  global
        .offset:         80
        .size:           8
        .value_kind:     global_buffer
      - .actual_access:  write_only
        .address_space:  global
        .offset:         88
        .size:           8
        .value_kind:     global_buffer
      - .actual_access:  write_only
        .address_space:  global
        .offset:         96
        .size:           8
        .value_kind:     global_buffer
      - .offset:         104
        .size:           4
        .value_kind:     by_value
      - .offset:         108
        .size:           4
        .value_kind:     by_value
      - .offset:         112
        .size:           4
        .value_kind:     by_value
      - .offset:         116
        .size:           1
        .value_kind:     by_value
      - .offset:         117
        .size:           1
        .value_kind:     by_value
      - .offset:         118
        .size:           1
        .value_kind:     by_value
    .group_segment_fixed_size: 1280
    .kernarg_segment_align: 8
    .kernarg_segment_size: 120
    .language:       OpenCL C
    .language_version:
      - 2
      - 0
    .max_flat_workgroup_size: 256
    .name:           _ZN9rocsparseL29csrgeam_fill_multipass_kernelILj256ELj32EiifEEvllNS_24const_host_device_scalarIT3_EEPKT1_PKT2_PKS2_S3_S6_S9_SB_S6_PS7_PS2_21rocsparse_index_base_SE_SE_bbb
    .private_segment_fixed_size: 0
    .sgpr_count:     32
    .sgpr_spill_count: 0
    .symbol:         _ZN9rocsparseL29csrgeam_fill_multipass_kernelILj256ELj32EiifEEvllNS_24const_host_device_scalarIT3_EEPKT1_PKT2_PKS2_S3_S6_S9_SB_S6_PS7_PS2_21rocsparse_index_base_SE_SE_bbb.kd
    .uniform_work_group_size: 1
    .uses_dynamic_stack: false
    .vgpr_count:     30
    .vgpr_spill_count: 0
    .wavefront_size: 64
  - .agpr_count:     0
    .args:
      - .offset:         0
        .size:           8
        .value_kind:     by_value
      - .offset:         8
        .size:           8
        .value_kind:     by_value
      - .offset:         16
        .size:           8
        .value_kind:     by_value
      - .actual_access:  read_only
        .address_space:  global
        .offset:         24
        .size:           8
        .value_kind:     global_buffer
      - .actual_access:  read_only
        .address_space:  global
        .offset:         32
        .size:           8
        .value_kind:     global_buffer
      - .actual_access:  read_only
        .address_space:  global
        .offset:         40
        .size:           8
        .value_kind:     global_buffer
      - .offset:         48
        .size:           8
        .value_kind:     by_value
      - .actual_access:  read_only
        .address_space:  global
        .offset:         56
        .size:           8
        .value_kind:     global_buffer
      - .actual_access:  read_only
        .address_space:  global
        .offset:         64
        .size:           8
        .value_kind:     global_buffer
      - .actual_access:  read_only
        .address_space:  global
        .offset:         72
        .size:           8
        .value_kind:     global_buffer
      - .actual_access:  read_only
        .address_space:  global
        .offset:         80
        .size:           8
        .value_kind:     global_buffer
      - .actual_access:  write_only
        .address_space:  global
        .offset:         88
        .size:           8
        .value_kind:     global_buffer
      - .actual_access:  write_only
        .address_space:  global
        .offset:         96
        .size:           8
        .value_kind:     global_buffer
      - .offset:         104
        .size:           4
        .value_kind:     by_value
      - .offset:         108
        .size:           4
        .value_kind:     by_value
      - .offset:         112
        .size:           4
        .value_kind:     by_value
      - .offset:         116
        .size:           1
        .value_kind:     by_value
      - .offset:         117
        .size:           1
        .value_kind:     by_value
      - .offset:         118
        .size:           1
        .value_kind:     by_value
    .group_segment_fixed_size: 1280
    .kernarg_segment_align: 8
    .kernarg_segment_size: 120
    .language:       OpenCL C
    .language_version:
      - 2
      - 0
    .max_flat_workgroup_size: 256
    .name:           _ZN9rocsparseL29csrgeam_fill_multipass_kernelILj256ELj64EiifEEvllNS_24const_host_device_scalarIT3_EEPKT1_PKT2_PKS2_S3_S6_S9_SB_S6_PS7_PS2_21rocsparse_index_base_SE_SE_bbb
    .private_segment_fixed_size: 0
    .sgpr_count:     32
    .sgpr_spill_count: 0
    .symbol:         _ZN9rocsparseL29csrgeam_fill_multipass_kernelILj256ELj64EiifEEvllNS_24const_host_device_scalarIT3_EEPKT1_PKT2_PKS2_S3_S6_S9_SB_S6_PS7_PS2_21rocsparse_index_base_SE_SE_bbb.kd
    .uniform_work_group_size: 1
    .uses_dynamic_stack: false
    .vgpr_count:     32
    .vgpr_spill_count: 0
    .wavefront_size: 64
  - .agpr_count:     0
    .args:
      - .offset:         0
        .size:           8
        .value_kind:     by_value
      - .offset:         8
        .size:           8
        .value_kind:     by_value
      - .offset:         16
        .size:           8
        .value_kind:     by_value
      - .actual_access:  read_only
        .address_space:  global
        .offset:         24
        .size:           8
        .value_kind:     global_buffer
      - .actual_access:  read_only
        .address_space:  global
        .offset:         32
        .size:           8
        .value_kind:     global_buffer
      - .actual_access:  read_only
        .address_space:  global
        .offset:         40
        .size:           8
        .value_kind:     global_buffer
      - .offset:         48
        .size:           8
        .value_kind:     by_value
      - .actual_access:  read_only
        .address_space:  global
        .offset:         56
        .size:           8
        .value_kind:     global_buffer
      - .actual_access:  read_only
        .address_space:  global
        .offset:         64
        .size:           8
        .value_kind:     global_buffer
      - .actual_access:  read_only
        .address_space:  global
        .offset:         72
        .size:           8
        .value_kind:     global_buffer
      - .actual_access:  read_only
        .address_space:  global
        .offset:         80
        .size:           8
        .value_kind:     global_buffer
      - .actual_access:  write_only
        .address_space:  global
        .offset:         88
        .size:           8
        .value_kind:     global_buffer
      - .actual_access:  write_only
        .address_space:  global
        .offset:         96
        .size:           8
        .value_kind:     global_buffer
      - .offset:         104
        .size:           4
        .value_kind:     by_value
      - .offset:         108
        .size:           4
        .value_kind:     by_value
      - .offset:         112
        .size:           4
        .value_kind:     by_value
      - .offset:         116
        .size:           1
        .value_kind:     by_value
      - .offset:         117
        .size:           1
        .value_kind:     by_value
      - .offset:         118
        .size:           1
        .value_kind:     by_value
    .group_segment_fixed_size: 1280
    .kernarg_segment_align: 8
    .kernarg_segment_size: 120
    .language:       OpenCL C
    .language_version:
      - 2
      - 0
    .max_flat_workgroup_size: 256
    .name:           _ZN9rocsparseL29csrgeam_fill_multipass_kernelILj256ELj32ElifEEvllNS_24const_host_device_scalarIT3_EEPKT1_PKT2_PKS2_S3_S6_S9_SB_S6_PS7_PS2_21rocsparse_index_base_SE_SE_bbb
    .private_segment_fixed_size: 0
    .sgpr_count:     36
    .sgpr_spill_count: 0
    .symbol:         _ZN9rocsparseL29csrgeam_fill_multipass_kernelILj256ELj32ElifEEvllNS_24const_host_device_scalarIT3_EEPKT1_PKT2_PKS2_S3_S6_S9_SB_S6_PS7_PS2_21rocsparse_index_base_SE_SE_bbb.kd
    .uniform_work_group_size: 1
    .uses_dynamic_stack: false
    .vgpr_count:     36
    .vgpr_spill_count: 0
    .wavefront_size: 64
  - .agpr_count:     0
    .args:
      - .offset:         0
        .size:           8
        .value_kind:     by_value
      - .offset:         8
        .size:           8
        .value_kind:     by_value
      - .offset:         16
        .size:           8
        .value_kind:     by_value
      - .actual_access:  read_only
        .address_space:  global
        .offset:         24
        .size:           8
        .value_kind:     global_buffer
      - .actual_access:  read_only
        .address_space:  global
        .offset:         32
        .size:           8
        .value_kind:     global_buffer
      - .actual_access:  read_only
        .address_space:  global
        .offset:         40
        .size:           8
        .value_kind:     global_buffer
      - .offset:         48
        .size:           8
        .value_kind:     by_value
      - .actual_access:  read_only
        .address_space:  global
        .offset:         56
        .size:           8
        .value_kind:     global_buffer
      - .actual_access:  read_only
        .address_space:  global
        .offset:         64
        .size:           8
        .value_kind:     global_buffer
      - .actual_access:  read_only
        .address_space:  global
        .offset:         72
        .size:           8
        .value_kind:     global_buffer
      - .actual_access:  read_only
        .address_space:  global
        .offset:         80
        .size:           8
        .value_kind:     global_buffer
      - .actual_access:  write_only
        .address_space:  global
        .offset:         88
        .size:           8
        .value_kind:     global_buffer
      - .actual_access:  write_only
        .address_space:  global
        .offset:         96
        .size:           8
        .value_kind:     global_buffer
      - .offset:         104
        .size:           4
        .value_kind:     by_value
      - .offset:         108
        .size:           4
        .value_kind:     by_value
      - .offset:         112
        .size:           4
        .value_kind:     by_value
      - .offset:         116
        .size:           1
        .value_kind:     by_value
      - .offset:         117
        .size:           1
        .value_kind:     by_value
      - .offset:         118
        .size:           1
        .value_kind:     by_value
    .group_segment_fixed_size: 1280
    .kernarg_segment_align: 8
    .kernarg_segment_size: 120
    .language:       OpenCL C
    .language_version:
      - 2
      - 0
    .max_flat_workgroup_size: 256
    .name:           _ZN9rocsparseL29csrgeam_fill_multipass_kernelILj256ELj64ElifEEvllNS_24const_host_device_scalarIT3_EEPKT1_PKT2_PKS2_S3_S6_S9_SB_S6_PS7_PS2_21rocsparse_index_base_SE_SE_bbb
    .private_segment_fixed_size: 0
    .sgpr_count:     36
    .sgpr_spill_count: 0
    .symbol:         _ZN9rocsparseL29csrgeam_fill_multipass_kernelILj256ELj64ElifEEvllNS_24const_host_device_scalarIT3_EEPKT1_PKT2_PKS2_S3_S6_S9_SB_S6_PS7_PS2_21rocsparse_index_base_SE_SE_bbb.kd
    .uniform_work_group_size: 1
    .uses_dynamic_stack: false
    .vgpr_count:     38
    .vgpr_spill_count: 0
    .wavefront_size: 64
  - .agpr_count:     0
    .args:
      - .offset:         0
        .size:           8
        .value_kind:     by_value
      - .offset:         8
        .size:           8
        .value_kind:     by_value
      - .offset:         16
        .size:           8
        .value_kind:     by_value
      - .actual_access:  read_only
        .address_space:  global
        .offset:         24
        .size:           8
        .value_kind:     global_buffer
      - .actual_access:  read_only
        .address_space:  global
        .offset:         32
        .size:           8
        .value_kind:     global_buffer
      - .actual_access:  read_only
        .address_space:  global
        .offset:         40
        .size:           8
        .value_kind:     global_buffer
      - .offset:         48
        .size:           8
        .value_kind:     by_value
      - .actual_access:  read_only
        .address_space:  global
        .offset:         56
        .size:           8
        .value_kind:     global_buffer
      - .actual_access:  read_only
        .address_space:  global
        .offset:         64
        .size:           8
        .value_kind:     global_buffer
      - .actual_access:  read_only
        .address_space:  global
        .offset:         72
        .size:           8
        .value_kind:     global_buffer
      - .actual_access:  read_only
        .address_space:  global
        .offset:         80
        .size:           8
        .value_kind:     global_buffer
      - .actual_access:  write_only
        .address_space:  global
        .offset:         88
        .size:           8
        .value_kind:     global_buffer
      - .actual_access:  write_only
        .address_space:  global
        .offset:         96
        .size:           8
        .value_kind:     global_buffer
      - .offset:         104
        .size:           4
        .value_kind:     by_value
      - .offset:         108
        .size:           4
        .value_kind:     by_value
      - .offset:         112
        .size:           4
        .value_kind:     by_value
      - .offset:         116
        .size:           1
        .value_kind:     by_value
      - .offset:         117
        .size:           1
        .value_kind:     by_value
      - .offset:         118
        .size:           1
        .value_kind:     by_value
    .group_segment_fixed_size: 1280
    .kernarg_segment_align: 8
    .kernarg_segment_size: 120
    .language:       OpenCL C
    .language_version:
      - 2
      - 0
    .max_flat_workgroup_size: 256
    .name:           _ZN9rocsparseL29csrgeam_fill_multipass_kernelILj256ELj32EllfEEvllNS_24const_host_device_scalarIT3_EEPKT1_PKT2_PKS2_S3_S6_S9_SB_S6_PS7_PS2_21rocsparse_index_base_SE_SE_bbb
    .private_segment_fixed_size: 0
    .sgpr_count:     40
    .sgpr_spill_count: 0
    .symbol:         _ZN9rocsparseL29csrgeam_fill_multipass_kernelILj256ELj32EllfEEvllNS_24const_host_device_scalarIT3_EEPKT1_PKT2_PKS2_S3_S6_S9_SB_S6_PS7_PS2_21rocsparse_index_base_SE_SE_bbb.kd
    .uniform_work_group_size: 1
    .uses_dynamic_stack: false
    .vgpr_count:     39
    .vgpr_spill_count: 0
    .wavefront_size: 64
  - .agpr_count:     0
    .args:
      - .offset:         0
        .size:           8
        .value_kind:     by_value
      - .offset:         8
        .size:           8
        .value_kind:     by_value
      - .offset:         16
        .size:           8
        .value_kind:     by_value
      - .actual_access:  read_only
        .address_space:  global
        .offset:         24
        .size:           8
        .value_kind:     global_buffer
      - .actual_access:  read_only
        .address_space:  global
        .offset:         32
        .size:           8
        .value_kind:     global_buffer
      - .actual_access:  read_only
        .address_space:  global
        .offset:         40
        .size:           8
        .value_kind:     global_buffer
      - .offset:         48
        .size:           8
        .value_kind:     by_value
      - .actual_access:  read_only
        .address_space:  global
        .offset:         56
        .size:           8
        .value_kind:     global_buffer
      - .actual_access:  read_only
        .address_space:  global
        .offset:         64
        .size:           8
        .value_kind:     global_buffer
      - .actual_access:  read_only
        .address_space:  global
        .offset:         72
        .size:           8
        .value_kind:     global_buffer
      - .actual_access:  read_only
        .address_space:  global
        .offset:         80
        .size:           8
        .value_kind:     global_buffer
      - .actual_access:  write_only
        .address_space:  global
        .offset:         88
        .size:           8
        .value_kind:     global_buffer
      - .actual_access:  write_only
        .address_space:  global
        .offset:         96
        .size:           8
        .value_kind:     global_buffer
      - .offset:         104
        .size:           4
        .value_kind:     by_value
      - .offset:         108
        .size:           4
        .value_kind:     by_value
      - .offset:         112
        .size:           4
        .value_kind:     by_value
      - .offset:         116
        .size:           1
        .value_kind:     by_value
      - .offset:         117
        .size:           1
        .value_kind:     by_value
      - .offset:         118
        .size:           1
        .value_kind:     by_value
    .group_segment_fixed_size: 1280
    .kernarg_segment_align: 8
    .kernarg_segment_size: 120
    .language:       OpenCL C
    .language_version:
      - 2
      - 0
    .max_flat_workgroup_size: 256
    .name:           _ZN9rocsparseL29csrgeam_fill_multipass_kernelILj256ELj64EllfEEvllNS_24const_host_device_scalarIT3_EEPKT1_PKT2_PKS2_S3_S6_S9_SB_S6_PS7_PS2_21rocsparse_index_base_SE_SE_bbb
    .private_segment_fixed_size: 0
    .sgpr_count:     40
    .sgpr_spill_count: 0
    .symbol:         _ZN9rocsparseL29csrgeam_fill_multipass_kernelILj256ELj64EllfEEvllNS_24const_host_device_scalarIT3_EEPKT1_PKT2_PKS2_S3_S6_S9_SB_S6_PS7_PS2_21rocsparse_index_base_SE_SE_bbb.kd
    .uniform_work_group_size: 1
    .uses_dynamic_stack: false
    .vgpr_count:     41
    .vgpr_spill_count: 0
    .wavefront_size: 64
  - .agpr_count:     0
    .args:
      - .offset:         0
        .size:           8
        .value_kind:     by_value
      - .offset:         8
        .size:           8
        .value_kind:     by_value
      - .offset:         16
        .size:           8
        .value_kind:     by_value
      - .actual_access:  read_only
        .address_space:  global
        .offset:         24
        .size:           8
        .value_kind:     global_buffer
      - .actual_access:  read_only
        .address_space:  global
        .offset:         32
        .size:           8
        .value_kind:     global_buffer
      - .actual_access:  read_only
        .address_space:  global
        .offset:         40
        .size:           8
        .value_kind:     global_buffer
      - .offset:         48
        .size:           8
        .value_kind:     by_value
      - .actual_access:  read_only
        .address_space:  global
        .offset:         56
        .size:           8
        .value_kind:     global_buffer
      - .actual_access:  read_only
        .address_space:  global
        .offset:         64
        .size:           8
        .value_kind:     global_buffer
      - .actual_access:  read_only
        .address_space:  global
        .offset:         72
        .size:           8
        .value_kind:     global_buffer
      - .actual_access:  read_only
        .address_space:  global
        .offset:         80
        .size:           8
        .value_kind:     global_buffer
      - .actual_access:  write_only
        .address_space:  global
        .offset:         88
        .size:           8
        .value_kind:     global_buffer
      - .actual_access:  write_only
        .address_space:  global
        .offset:         96
        .size:           8
        .value_kind:     global_buffer
      - .offset:         104
        .size:           4
        .value_kind:     by_value
      - .offset:         108
        .size:           4
        .value_kind:     by_value
      - .offset:         112
        .size:           4
        .value_kind:     by_value
      - .offset:         116
        .size:           1
        .value_kind:     by_value
      - .offset:         117
        .size:           1
        .value_kind:     by_value
      - .offset:         118
        .size:           1
        .value_kind:     by_value
    .group_segment_fixed_size: 2304
    .kernarg_segment_align: 8
    .kernarg_segment_size: 120
    .language:       OpenCL C
    .language_version:
      - 2
      - 0
    .max_flat_workgroup_size: 256
    .name:           _ZN9rocsparseL29csrgeam_fill_multipass_kernelILj256ELj32EiidEEvllNS_24const_host_device_scalarIT3_EEPKT1_PKT2_PKS2_S3_S6_S9_SB_S6_PS7_PS2_21rocsparse_index_base_SE_SE_bbb
    .private_segment_fixed_size: 0
    .sgpr_count:     32
    .sgpr_spill_count: 0
    .symbol:         _ZN9rocsparseL29csrgeam_fill_multipass_kernelILj256ELj32EiidEEvllNS_24const_host_device_scalarIT3_EEPKT1_PKT2_PKS2_S3_S6_S9_SB_S6_PS7_PS2_21rocsparse_index_base_SE_SE_bbb.kd
    .uniform_work_group_size: 1
    .uses_dynamic_stack: false
    .vgpr_count:     36
    .vgpr_spill_count: 0
    .wavefront_size: 64
  - .agpr_count:     0
    .args:
      - .offset:         0
        .size:           8
        .value_kind:     by_value
      - .offset:         8
        .size:           8
        .value_kind:     by_value
      - .offset:         16
        .size:           8
        .value_kind:     by_value
      - .actual_access:  read_only
        .address_space:  global
        .offset:         24
        .size:           8
        .value_kind:     global_buffer
      - .actual_access:  read_only
        .address_space:  global
        .offset:         32
        .size:           8
        .value_kind:     global_buffer
      - .actual_access:  read_only
        .address_space:  global
        .offset:         40
        .size:           8
        .value_kind:     global_buffer
      - .offset:         48
        .size:           8
        .value_kind:     by_value
      - .actual_access:  read_only
        .address_space:  global
        .offset:         56
        .size:           8
        .value_kind:     global_buffer
      - .actual_access:  read_only
        .address_space:  global
        .offset:         64
        .size:           8
        .value_kind:     global_buffer
      - .actual_access:  read_only
        .address_space:  global
        .offset:         72
        .size:           8
        .value_kind:     global_buffer
      - .actual_access:  read_only
        .address_space:  global
        .offset:         80
        .size:           8
        .value_kind:     global_buffer
      - .actual_access:  write_only
        .address_space:  global
        .offset:         88
        .size:           8
        .value_kind:     global_buffer
      - .actual_access:  write_only
        .address_space:  global
        .offset:         96
        .size:           8
        .value_kind:     global_buffer
      - .offset:         104
        .size:           4
        .value_kind:     by_value
      - .offset:         108
        .size:           4
        .value_kind:     by_value
      - .offset:         112
        .size:           4
        .value_kind:     by_value
      - .offset:         116
        .size:           1
        .value_kind:     by_value
      - .offset:         117
        .size:           1
        .value_kind:     by_value
      - .offset:         118
        .size:           1
        .value_kind:     by_value
    .group_segment_fixed_size: 2304
    .kernarg_segment_align: 8
    .kernarg_segment_size: 120
    .language:       OpenCL C
    .language_version:
      - 2
      - 0
    .max_flat_workgroup_size: 256
    .name:           _ZN9rocsparseL29csrgeam_fill_multipass_kernelILj256ELj64EiidEEvllNS_24const_host_device_scalarIT3_EEPKT1_PKT2_PKS2_S3_S6_S9_SB_S6_PS7_PS2_21rocsparse_index_base_SE_SE_bbb
    .private_segment_fixed_size: 0
    .sgpr_count:     32
    .sgpr_spill_count: 0
    .symbol:         _ZN9rocsparseL29csrgeam_fill_multipass_kernelILj256ELj64EiidEEvllNS_24const_host_device_scalarIT3_EEPKT1_PKT2_PKS2_S3_S6_S9_SB_S6_PS7_PS2_21rocsparse_index_base_SE_SE_bbb.kd
    .uniform_work_group_size: 1
    .uses_dynamic_stack: false
    .vgpr_count:     36
    .vgpr_spill_count: 0
    .wavefront_size: 64
  - .agpr_count:     0
    .args:
      - .offset:         0
        .size:           8
        .value_kind:     by_value
      - .offset:         8
        .size:           8
        .value_kind:     by_value
      - .offset:         16
        .size:           8
        .value_kind:     by_value
      - .actual_access:  read_only
        .address_space:  global
        .offset:         24
        .size:           8
        .value_kind:     global_buffer
      - .actual_access:  read_only
        .address_space:  global
        .offset:         32
        .size:           8
        .value_kind:     global_buffer
      - .actual_access:  read_only
        .address_space:  global
        .offset:         40
        .size:           8
        .value_kind:     global_buffer
      - .offset:         48
        .size:           8
        .value_kind:     by_value
      - .actual_access:  read_only
        .address_space:  global
        .offset:         56
        .size:           8
        .value_kind:     global_buffer
      - .actual_access:  read_only
        .address_space:  global
        .offset:         64
        .size:           8
        .value_kind:     global_buffer
      - .actual_access:  read_only
        .address_space:  global
        .offset:         72
        .size:           8
        .value_kind:     global_buffer
      - .actual_access:  read_only
        .address_space:  global
        .offset:         80
        .size:           8
        .value_kind:     global_buffer
      - .actual_access:  write_only
        .address_space:  global
        .offset:         88
        .size:           8
        .value_kind:     global_buffer
      - .actual_access:  write_only
        .address_space:  global
        .offset:         96
        .size:           8
        .value_kind:     global_buffer
      - .offset:         104
        .size:           4
        .value_kind:     by_value
      - .offset:         108
        .size:           4
        .value_kind:     by_value
      - .offset:         112
        .size:           4
        .value_kind:     by_value
      - .offset:         116
        .size:           1
        .value_kind:     by_value
      - .offset:         117
        .size:           1
        .value_kind:     by_value
      - .offset:         118
        .size:           1
        .value_kind:     by_value
    .group_segment_fixed_size: 2304
    .kernarg_segment_align: 8
    .kernarg_segment_size: 120
    .language:       OpenCL C
    .language_version:
      - 2
      - 0
    .max_flat_workgroup_size: 256
    .name:           _ZN9rocsparseL29csrgeam_fill_multipass_kernelILj256ELj32ElidEEvllNS_24const_host_device_scalarIT3_EEPKT1_PKT2_PKS2_S3_S6_S9_SB_S6_PS7_PS2_21rocsparse_index_base_SE_SE_bbb
    .private_segment_fixed_size: 0
    .sgpr_count:     38
    .sgpr_spill_count: 0
    .symbol:         _ZN9rocsparseL29csrgeam_fill_multipass_kernelILj256ELj32ElidEEvllNS_24const_host_device_scalarIT3_EEPKT1_PKT2_PKS2_S3_S6_S9_SB_S6_PS7_PS2_21rocsparse_index_base_SE_SE_bbb.kd
    .uniform_work_group_size: 1
    .uses_dynamic_stack: false
    .vgpr_count:     42
    .vgpr_spill_count: 0
    .wavefront_size: 64
  - .agpr_count:     0
    .args:
      - .offset:         0
        .size:           8
        .value_kind:     by_value
      - .offset:         8
        .size:           8
        .value_kind:     by_value
      - .offset:         16
        .size:           8
        .value_kind:     by_value
      - .actual_access:  read_only
        .address_space:  global
        .offset:         24
        .size:           8
        .value_kind:     global_buffer
      - .actual_access:  read_only
        .address_space:  global
        .offset:         32
        .size:           8
        .value_kind:     global_buffer
      - .actual_access:  read_only
        .address_space:  global
        .offset:         40
        .size:           8
        .value_kind:     global_buffer
      - .offset:         48
        .size:           8
        .value_kind:     by_value
      - .actual_access:  read_only
        .address_space:  global
        .offset:         56
        .size:           8
        .value_kind:     global_buffer
      - .actual_access:  read_only
        .address_space:  global
        .offset:         64
        .size:           8
        .value_kind:     global_buffer
      - .actual_access:  read_only
        .address_space:  global
        .offset:         72
        .size:           8
        .value_kind:     global_buffer
      - .actual_access:  read_only
        .address_space:  global
        .offset:         80
        .size:           8
        .value_kind:     global_buffer
      - .actual_access:  write_only
        .address_space:  global
        .offset:         88
        .size:           8
        .value_kind:     global_buffer
      - .actual_access:  write_only
        .address_space:  global
        .offset:         96
        .size:           8
        .value_kind:     global_buffer
      - .offset:         104
        .size:           4
        .value_kind:     by_value
      - .offset:         108
        .size:           4
        .value_kind:     by_value
      - .offset:         112
        .size:           4
        .value_kind:     by_value
      - .offset:         116
        .size:           1
        .value_kind:     by_value
      - .offset:         117
        .size:           1
        .value_kind:     by_value
      - .offset:         118
        .size:           1
        .value_kind:     by_value
    .group_segment_fixed_size: 2304
    .kernarg_segment_align: 8
    .kernarg_segment_size: 120
    .language:       OpenCL C
    .language_version:
      - 2
      - 0
    .max_flat_workgroup_size: 256
    .name:           _ZN9rocsparseL29csrgeam_fill_multipass_kernelILj256ELj64ElidEEvllNS_24const_host_device_scalarIT3_EEPKT1_PKT2_PKS2_S3_S6_S9_SB_S6_PS7_PS2_21rocsparse_index_base_SE_SE_bbb
    .private_segment_fixed_size: 0
    .sgpr_count:     38
    .sgpr_spill_count: 0
    .symbol:         _ZN9rocsparseL29csrgeam_fill_multipass_kernelILj256ELj64ElidEEvllNS_24const_host_device_scalarIT3_EEPKT1_PKT2_PKS2_S3_S6_S9_SB_S6_PS7_PS2_21rocsparse_index_base_SE_SE_bbb.kd
    .uniform_work_group_size: 1
    .uses_dynamic_stack: false
    .vgpr_count:     44
    .vgpr_spill_count: 0
    .wavefront_size: 64
  - .agpr_count:     0
    .args:
      - .offset:         0
        .size:           8
        .value_kind:     by_value
      - .offset:         8
        .size:           8
        .value_kind:     by_value
      - .offset:         16
        .size:           8
        .value_kind:     by_value
      - .actual_access:  read_only
        .address_space:  global
        .offset:         24
        .size:           8
        .value_kind:     global_buffer
      - .actual_access:  read_only
        .address_space:  global
        .offset:         32
        .size:           8
        .value_kind:     global_buffer
      - .actual_access:  read_only
        .address_space:  global
        .offset:         40
        .size:           8
        .value_kind:     global_buffer
      - .offset:         48
        .size:           8
        .value_kind:     by_value
      - .actual_access:  read_only
        .address_space:  global
        .offset:         56
        .size:           8
        .value_kind:     global_buffer
      - .actual_access:  read_only
        .address_space:  global
        .offset:         64
        .size:           8
        .value_kind:     global_buffer
      - .actual_access:  read_only
        .address_space:  global
        .offset:         72
        .size:           8
        .value_kind:     global_buffer
      - .actual_access:  read_only
        .address_space:  global
        .offset:         80
        .size:           8
        .value_kind:     global_buffer
      - .actual_access:  write_only
        .address_space:  global
        .offset:         88
        .size:           8
        .value_kind:     global_buffer
      - .actual_access:  write_only
        .address_space:  global
        .offset:         96
        .size:           8
        .value_kind:     global_buffer
      - .offset:         104
        .size:           4
        .value_kind:     by_value
      - .offset:         108
        .size:           4
        .value_kind:     by_value
      - .offset:         112
        .size:           4
        .value_kind:     by_value
      - .offset:         116
        .size:           1
        .value_kind:     by_value
      - .offset:         117
        .size:           1
        .value_kind:     by_value
      - .offset:         118
        .size:           1
        .value_kind:     by_value
    .group_segment_fixed_size: 2304
    .kernarg_segment_align: 8
    .kernarg_segment_size: 120
    .language:       OpenCL C
    .language_version:
      - 2
      - 0
    .max_flat_workgroup_size: 256
    .name:           _ZN9rocsparseL29csrgeam_fill_multipass_kernelILj256ELj32ElldEEvllNS_24const_host_device_scalarIT3_EEPKT1_PKT2_PKS2_S3_S6_S9_SB_S6_PS7_PS2_21rocsparse_index_base_SE_SE_bbb
    .private_segment_fixed_size: 0
    .sgpr_count:     37
    .sgpr_spill_count: 0
    .symbol:         _ZN9rocsparseL29csrgeam_fill_multipass_kernelILj256ELj32ElldEEvllNS_24const_host_device_scalarIT3_EEPKT1_PKT2_PKS2_S3_S6_S9_SB_S6_PS7_PS2_21rocsparse_index_base_SE_SE_bbb.kd
    .uniform_work_group_size: 1
    .uses_dynamic_stack: false
    .vgpr_count:     46
    .vgpr_spill_count: 0
    .wavefront_size: 64
  - .agpr_count:     0
    .args:
      - .offset:         0
        .size:           8
        .value_kind:     by_value
      - .offset:         8
        .size:           8
        .value_kind:     by_value
      - .offset:         16
        .size:           8
        .value_kind:     by_value
      - .actual_access:  read_only
        .address_space:  global
        .offset:         24
        .size:           8
        .value_kind:     global_buffer
      - .actual_access:  read_only
        .address_space:  global
        .offset:         32
        .size:           8
        .value_kind:     global_buffer
      - .actual_access:  read_only
        .address_space:  global
        .offset:         40
        .size:           8
        .value_kind:     global_buffer
      - .offset:         48
        .size:           8
        .value_kind:     by_value
      - .actual_access:  read_only
        .address_space:  global
        .offset:         56
        .size:           8
        .value_kind:     global_buffer
      - .actual_access:  read_only
        .address_space:  global
        .offset:         64
        .size:           8
        .value_kind:     global_buffer
      - .actual_access:  read_only
        .address_space:  global
        .offset:         72
        .size:           8
        .value_kind:     global_buffer
      - .actual_access:  read_only
        .address_space:  global
        .offset:         80
        .size:           8
        .value_kind:     global_buffer
      - .actual_access:  write_only
        .address_space:  global
        .offset:         88
        .size:           8
        .value_kind:     global_buffer
      - .actual_access:  write_only
        .address_space:  global
        .offset:         96
        .size:           8
        .value_kind:     global_buffer
      - .offset:         104
        .size:           4
        .value_kind:     by_value
      - .offset:         108
        .size:           4
        .value_kind:     by_value
      - .offset:         112
        .size:           4
        .value_kind:     by_value
      - .offset:         116
        .size:           1
        .value_kind:     by_value
      - .offset:         117
        .size:           1
        .value_kind:     by_value
      - .offset:         118
        .size:           1
        .value_kind:     by_value
    .group_segment_fixed_size: 2304
    .kernarg_segment_align: 8
    .kernarg_segment_size: 120
    .language:       OpenCL C
    .language_version:
      - 2
      - 0
    .max_flat_workgroup_size: 256
    .name:           _ZN9rocsparseL29csrgeam_fill_multipass_kernelILj256ELj64ElldEEvllNS_24const_host_device_scalarIT3_EEPKT1_PKT2_PKS2_S3_S6_S9_SB_S6_PS7_PS2_21rocsparse_index_base_SE_SE_bbb
    .private_segment_fixed_size: 0
    .sgpr_count:     37
    .sgpr_spill_count: 0
    .symbol:         _ZN9rocsparseL29csrgeam_fill_multipass_kernelILj256ELj64ElldEEvllNS_24const_host_device_scalarIT3_EEPKT1_PKT2_PKS2_S3_S6_S9_SB_S6_PS7_PS2_21rocsparse_index_base_SE_SE_bbb.kd
    .uniform_work_group_size: 1
    .uses_dynamic_stack: false
    .vgpr_count:     48
    .vgpr_spill_count: 0
    .wavefront_size: 64
  - .agpr_count:     0
    .args:
      - .offset:         0
        .size:           8
        .value_kind:     by_value
      - .offset:         8
        .size:           8
        .value_kind:     by_value
      - .offset:         16
        .size:           8
        .value_kind:     by_value
      - .actual_access:  read_only
        .address_space:  global
        .offset:         24
        .size:           8
        .value_kind:     global_buffer
      - .actual_access:  read_only
        .address_space:  global
        .offset:         32
        .size:           8
        .value_kind:     global_buffer
      - .actual_access:  read_only
        .address_space:  global
        .offset:         40
        .size:           8
        .value_kind:     global_buffer
      - .offset:         48
        .size:           8
        .value_kind:     by_value
      - .actual_access:  read_only
        .address_space:  global
        .offset:         56
        .size:           8
        .value_kind:     global_buffer
      - .actual_access:  read_only
        .address_space:  global
        .offset:         64
        .size:           8
        .value_kind:     global_buffer
      - .actual_access:  read_only
        .address_space:  global
        .offset:         72
        .size:           8
        .value_kind:     global_buffer
      - .actual_access:  read_only
        .address_space:  global
        .offset:         80
        .size:           8
        .value_kind:     global_buffer
      - .actual_access:  write_only
        .address_space:  global
        .offset:         88
        .size:           8
        .value_kind:     global_buffer
      - .actual_access:  write_only
        .address_space:  global
        .offset:         96
        .size:           8
        .value_kind:     global_buffer
      - .offset:         104
        .size:           4
        .value_kind:     by_value
      - .offset:         108
        .size:           4
        .value_kind:     by_value
      - .offset:         112
        .size:           4
        .value_kind:     by_value
      - .offset:         116
        .size:           1
        .value_kind:     by_value
      - .offset:         117
        .size:           1
        .value_kind:     by_value
      - .offset:         118
        .size:           1
        .value_kind:     by_value
    .group_segment_fixed_size: 2304
    .kernarg_segment_align: 8
    .kernarg_segment_size: 120
    .language:       OpenCL C
    .language_version:
      - 2
      - 0
    .max_flat_workgroup_size: 256
    .name:           _ZN9rocsparseL29csrgeam_fill_multipass_kernelILj256ELj32Eii21rocsparse_complex_numIfEEEvllNS_24const_host_device_scalarIT3_EEPKT1_PKT2_PKS4_S5_S8_SB_SD_S8_PS9_PS4_21rocsparse_index_base_SG_SG_bbb
    .private_segment_fixed_size: 0
    .sgpr_count:     44
    .sgpr_spill_count: 0
    .symbol:         _ZN9rocsparseL29csrgeam_fill_multipass_kernelILj256ELj32Eii21rocsparse_complex_numIfEEEvllNS_24const_host_device_scalarIT3_EEPKT1_PKT2_PKS4_S5_S8_SB_SD_S8_PS9_PS4_21rocsparse_index_base_SG_SG_bbb.kd
    .uniform_work_group_size: 1
    .uses_dynamic_stack: false
    .vgpr_count:     32
    .vgpr_spill_count: 0
    .wavefront_size: 64
  - .agpr_count:     0
    .args:
      - .offset:         0
        .size:           8
        .value_kind:     by_value
      - .offset:         8
        .size:           8
        .value_kind:     by_value
      - .offset:         16
        .size:           8
        .value_kind:     by_value
      - .actual_access:  read_only
        .address_space:  global
        .offset:         24
        .size:           8
        .value_kind:     global_buffer
      - .actual_access:  read_only
        .address_space:  global
        .offset:         32
        .size:           8
        .value_kind:     global_buffer
      - .actual_access:  read_only
        .address_space:  global
        .offset:         40
        .size:           8
        .value_kind:     global_buffer
      - .offset:         48
        .size:           8
        .value_kind:     by_value
      - .actual_access:  read_only
        .address_space:  global
        .offset:         56
        .size:           8
        .value_kind:     global_buffer
      - .actual_access:  read_only
        .address_space:  global
        .offset:         64
        .size:           8
        .value_kind:     global_buffer
      - .actual_access:  read_only
        .address_space:  global
        .offset:         72
        .size:           8
        .value_kind:     global_buffer
      - .actual_access:  read_only
        .address_space:  global
        .offset:         80
        .size:           8
        .value_kind:     global_buffer
      - .actual_access:  write_only
        .address_space:  global
        .offset:         88
        .size:           8
        .value_kind:     global_buffer
      - .actual_access:  write_only
        .address_space:  global
        .offset:         96
        .size:           8
        .value_kind:     global_buffer
      - .offset:         104
        .size:           4
        .value_kind:     by_value
      - .offset:         108
        .size:           4
        .value_kind:     by_value
      - .offset:         112
        .size:           4
        .value_kind:     by_value
      - .offset:         116
        .size:           1
        .value_kind:     by_value
      - .offset:         117
        .size:           1
        .value_kind:     by_value
      - .offset:         118
        .size:           1
        .value_kind:     by_value
    .group_segment_fixed_size: 2304
    .kernarg_segment_align: 8
    .kernarg_segment_size: 120
    .language:       OpenCL C
    .language_version:
      - 2
      - 0
    .max_flat_workgroup_size: 256
    .name:           _ZN9rocsparseL29csrgeam_fill_multipass_kernelILj256ELj64Eii21rocsparse_complex_numIfEEEvllNS_24const_host_device_scalarIT3_EEPKT1_PKT2_PKS4_S5_S8_SB_SD_S8_PS9_PS4_21rocsparse_index_base_SG_SG_bbb
    .private_segment_fixed_size: 0
    .sgpr_count:     44
    .sgpr_spill_count: 0
    .symbol:         _ZN9rocsparseL29csrgeam_fill_multipass_kernelILj256ELj64Eii21rocsparse_complex_numIfEEEvllNS_24const_host_device_scalarIT3_EEPKT1_PKT2_PKS4_S5_S8_SB_SD_S8_PS9_PS4_21rocsparse_index_base_SG_SG_bbb.kd
    .uniform_work_group_size: 1
    .uses_dynamic_stack: false
    .vgpr_count:     32
    .vgpr_spill_count: 0
    .wavefront_size: 64
  - .agpr_count:     0
    .args:
      - .offset:         0
        .size:           8
        .value_kind:     by_value
      - .offset:         8
        .size:           8
        .value_kind:     by_value
      - .offset:         16
        .size:           8
        .value_kind:     by_value
      - .actual_access:  read_only
        .address_space:  global
        .offset:         24
        .size:           8
        .value_kind:     global_buffer
      - .actual_access:  read_only
        .address_space:  global
        .offset:         32
        .size:           8
        .value_kind:     global_buffer
      - .actual_access:  read_only
        .address_space:  global
        .offset:         40
        .size:           8
        .value_kind:     global_buffer
      - .offset:         48
        .size:           8
        .value_kind:     by_value
      - .actual_access:  read_only
        .address_space:  global
        .offset:         56
        .size:           8
        .value_kind:     global_buffer
      - .actual_access:  read_only
        .address_space:  global
        .offset:         64
        .size:           8
        .value_kind:     global_buffer
      - .actual_access:  read_only
        .address_space:  global
        .offset:         72
        .size:           8
        .value_kind:     global_buffer
      - .actual_access:  read_only
        .address_space:  global
        .offset:         80
        .size:           8
        .value_kind:     global_buffer
      - .actual_access:  write_only
        .address_space:  global
        .offset:         88
        .size:           8
        .value_kind:     global_buffer
      - .actual_access:  write_only
        .address_space:  global
        .offset:         96
        .size:           8
        .value_kind:     global_buffer
      - .offset:         104
        .size:           4
        .value_kind:     by_value
      - .offset:         108
        .size:           4
        .value_kind:     by_value
      - .offset:         112
        .size:           4
        .value_kind:     by_value
      - .offset:         116
        .size:           1
        .value_kind:     by_value
      - .offset:         117
        .size:           1
        .value_kind:     by_value
      - .offset:         118
        .size:           1
        .value_kind:     by_value
    .group_segment_fixed_size: 2304
    .kernarg_segment_align: 8
    .kernarg_segment_size: 120
    .language:       OpenCL C
    .language_version:
      - 2
      - 0
    .max_flat_workgroup_size: 256
    .name:           _ZN9rocsparseL29csrgeam_fill_multipass_kernelILj256ELj32Eli21rocsparse_complex_numIfEEEvllNS_24const_host_device_scalarIT3_EEPKT1_PKT2_PKS4_S5_S8_SB_SD_S8_PS9_PS4_21rocsparse_index_base_SG_SG_bbb
    .private_segment_fixed_size: 0
    .sgpr_count:     48
    .sgpr_spill_count: 0
    .symbol:         _ZN9rocsparseL29csrgeam_fill_multipass_kernelILj256ELj32Eli21rocsparse_complex_numIfEEEvllNS_24const_host_device_scalarIT3_EEPKT1_PKT2_PKS4_S5_S8_SB_SD_S8_PS9_PS4_21rocsparse_index_base_SG_SG_bbb.kd
    .uniform_work_group_size: 1
    .uses_dynamic_stack: false
    .vgpr_count:     38
    .vgpr_spill_count: 0
    .wavefront_size: 64
  - .agpr_count:     0
    .args:
      - .offset:         0
        .size:           8
        .value_kind:     by_value
      - .offset:         8
        .size:           8
        .value_kind:     by_value
      - .offset:         16
        .size:           8
        .value_kind:     by_value
      - .actual_access:  read_only
        .address_space:  global
        .offset:         24
        .size:           8
        .value_kind:     global_buffer
      - .actual_access:  read_only
        .address_space:  global
        .offset:         32
        .size:           8
        .value_kind:     global_buffer
      - .actual_access:  read_only
        .address_space:  global
        .offset:         40
        .size:           8
        .value_kind:     global_buffer
      - .offset:         48
        .size:           8
        .value_kind:     by_value
      - .actual_access:  read_only
        .address_space:  global
        .offset:         56
        .size:           8
        .value_kind:     global_buffer
      - .actual_access:  read_only
        .address_space:  global
        .offset:         64
        .size:           8
        .value_kind:     global_buffer
      - .actual_access:  read_only
        .address_space:  global
        .offset:         72
        .size:           8
        .value_kind:     global_buffer
      - .actual_access:  read_only
        .address_space:  global
        .offset:         80
        .size:           8
        .value_kind:     global_buffer
      - .actual_access:  write_only
        .address_space:  global
        .offset:         88
        .size:           8
        .value_kind:     global_buffer
      - .actual_access:  write_only
        .address_space:  global
        .offset:         96
        .size:           8
        .value_kind:     global_buffer
      - .offset:         104
        .size:           4
        .value_kind:     by_value
      - .offset:         108
        .size:           4
        .value_kind:     by_value
      - .offset:         112
        .size:           4
        .value_kind:     by_value
      - .offset:         116
        .size:           1
        .value_kind:     by_value
      - .offset:         117
        .size:           1
        .value_kind:     by_value
      - .offset:         118
        .size:           1
        .value_kind:     by_value
    .group_segment_fixed_size: 2304
    .kernarg_segment_align: 8
    .kernarg_segment_size: 120
    .language:       OpenCL C
    .language_version:
      - 2
      - 0
    .max_flat_workgroup_size: 256
    .name:           _ZN9rocsparseL29csrgeam_fill_multipass_kernelILj256ELj64Eli21rocsparse_complex_numIfEEEvllNS_24const_host_device_scalarIT3_EEPKT1_PKT2_PKS4_S5_S8_SB_SD_S8_PS9_PS4_21rocsparse_index_base_SG_SG_bbb
    .private_segment_fixed_size: 0
    .sgpr_count:     48
    .sgpr_spill_count: 0
    .symbol:         _ZN9rocsparseL29csrgeam_fill_multipass_kernelILj256ELj64Eli21rocsparse_complex_numIfEEEvllNS_24const_host_device_scalarIT3_EEPKT1_PKT2_PKS4_S5_S8_SB_SD_S8_PS9_PS4_21rocsparse_index_base_SG_SG_bbb.kd
    .uniform_work_group_size: 1
    .uses_dynamic_stack: false
    .vgpr_count:     40
    .vgpr_spill_count: 0
    .wavefront_size: 64
  - .agpr_count:     0
    .args:
      - .offset:         0
        .size:           8
        .value_kind:     by_value
      - .offset:         8
        .size:           8
        .value_kind:     by_value
      - .offset:         16
        .size:           8
        .value_kind:     by_value
      - .actual_access:  read_only
        .address_space:  global
        .offset:         24
        .size:           8
        .value_kind:     global_buffer
      - .actual_access:  read_only
        .address_space:  global
        .offset:         32
        .size:           8
        .value_kind:     global_buffer
      - .actual_access:  read_only
        .address_space:  global
        .offset:         40
        .size:           8
        .value_kind:     global_buffer
      - .offset:         48
        .size:           8
        .value_kind:     by_value
      - .actual_access:  read_only
        .address_space:  global
        .offset:         56
        .size:           8
        .value_kind:     global_buffer
      - .actual_access:  read_only
        .address_space:  global
        .offset:         64
        .size:           8
        .value_kind:     global_buffer
      - .actual_access:  read_only
        .address_space:  global
        .offset:         72
        .size:           8
        .value_kind:     global_buffer
      - .actual_access:  read_only
        .address_space:  global
        .offset:         80
        .size:           8
        .value_kind:     global_buffer
      - .actual_access:  write_only
        .address_space:  global
        .offset:         88
        .size:           8
        .value_kind:     global_buffer
      - .actual_access:  write_only
        .address_space:  global
        .offset:         96
        .size:           8
        .value_kind:     global_buffer
      - .offset:         104
        .size:           4
        .value_kind:     by_value
      - .offset:         108
        .size:           4
        .value_kind:     by_value
      - .offset:         112
        .size:           4
        .value_kind:     by_value
      - .offset:         116
        .size:           1
        .value_kind:     by_value
      - .offset:         117
        .size:           1
        .value_kind:     by_value
      - .offset:         118
        .size:           1
        .value_kind:     by_value
    .group_segment_fixed_size: 2304
    .kernarg_segment_align: 8
    .kernarg_segment_size: 120
    .language:       OpenCL C
    .language_version:
      - 2
      - 0
    .max_flat_workgroup_size: 256
    .name:           _ZN9rocsparseL29csrgeam_fill_multipass_kernelILj256ELj32Ell21rocsparse_complex_numIfEEEvllNS_24const_host_device_scalarIT3_EEPKT1_PKT2_PKS4_S5_S8_SB_SD_S8_PS9_PS4_21rocsparse_index_base_SG_SG_bbb
    .private_segment_fixed_size: 0
    .sgpr_count:     46
    .sgpr_spill_count: 0
    .symbol:         _ZN9rocsparseL29csrgeam_fill_multipass_kernelILj256ELj32Ell21rocsparse_complex_numIfEEEvllNS_24const_host_device_scalarIT3_EEPKT1_PKT2_PKS4_S5_S8_SB_SD_S8_PS9_PS4_21rocsparse_index_base_SG_SG_bbb.kd
    .uniform_work_group_size: 1
    .uses_dynamic_stack: false
    .vgpr_count:     42
    .vgpr_spill_count: 0
    .wavefront_size: 64
  - .agpr_count:     0
    .args:
      - .offset:         0
        .size:           8
        .value_kind:     by_value
      - .offset:         8
        .size:           8
        .value_kind:     by_value
      - .offset:         16
        .size:           8
        .value_kind:     by_value
      - .actual_access:  read_only
        .address_space:  global
        .offset:         24
        .size:           8
        .value_kind:     global_buffer
      - .actual_access:  read_only
        .address_space:  global
        .offset:         32
        .size:           8
        .value_kind:     global_buffer
      - .actual_access:  read_only
        .address_space:  global
        .offset:         40
        .size:           8
        .value_kind:     global_buffer
      - .offset:         48
        .size:           8
        .value_kind:     by_value
      - .actual_access:  read_only
        .address_space:  global
        .offset:         56
        .size:           8
        .value_kind:     global_buffer
      - .actual_access:  read_only
        .address_space:  global
        .offset:         64
        .size:           8
        .value_kind:     global_buffer
      - .actual_access:  read_only
        .address_space:  global
        .offset:         72
        .size:           8
        .value_kind:     global_buffer
      - .actual_access:  read_only
        .address_space:  global
        .offset:         80
        .size:           8
        .value_kind:     global_buffer
      - .actual_access:  write_only
        .address_space:  global
        .offset:         88
        .size:           8
        .value_kind:     global_buffer
      - .actual_access:  write_only
        .address_space:  global
        .offset:         96
        .size:           8
        .value_kind:     global_buffer
      - .offset:         104
        .size:           4
        .value_kind:     by_value
      - .offset:         108
        .size:           4
        .value_kind:     by_value
      - .offset:         112
        .size:           4
        .value_kind:     by_value
      - .offset:         116
        .size:           1
        .value_kind:     by_value
      - .offset:         117
        .size:           1
        .value_kind:     by_value
      - .offset:         118
        .size:           1
        .value_kind:     by_value
    .group_segment_fixed_size: 2304
    .kernarg_segment_align: 8
    .kernarg_segment_size: 120
    .language:       OpenCL C
    .language_version:
      - 2
      - 0
    .max_flat_workgroup_size: 256
    .name:           _ZN9rocsparseL29csrgeam_fill_multipass_kernelILj256ELj64Ell21rocsparse_complex_numIfEEEvllNS_24const_host_device_scalarIT3_EEPKT1_PKT2_PKS4_S5_S8_SB_SD_S8_PS9_PS4_21rocsparse_index_base_SG_SG_bbb
    .private_segment_fixed_size: 0
    .sgpr_count:     46
    .sgpr_spill_count: 0
    .symbol:         _ZN9rocsparseL29csrgeam_fill_multipass_kernelILj256ELj64Ell21rocsparse_complex_numIfEEEvllNS_24const_host_device_scalarIT3_EEPKT1_PKT2_PKS4_S5_S8_SB_SD_S8_PS9_PS4_21rocsparse_index_base_SG_SG_bbb.kd
    .uniform_work_group_size: 1
    .uses_dynamic_stack: false
    .vgpr_count:     44
    .vgpr_spill_count: 0
    .wavefront_size: 64
  - .agpr_count:     0
    .args:
      - .offset:         0
        .size:           8
        .value_kind:     by_value
      - .offset:         8
        .size:           8
        .value_kind:     by_value
      - .offset:         16
        .size:           16
        .value_kind:     by_value
      - .actual_access:  read_only
        .address_space:  global
        .offset:         32
        .size:           8
        .value_kind:     global_buffer
      - .actual_access:  read_only
        .address_space:  global
        .offset:         40
        .size:           8
        .value_kind:     global_buffer
      - .actual_access:  read_only
        .address_space:  global
        .offset:         48
        .size:           8
        .value_kind:     global_buffer
      - .offset:         56
        .size:           16
        .value_kind:     by_value
      - .actual_access:  read_only
        .address_space:  global
        .offset:         72
        .size:           8
        .value_kind:     global_buffer
      - .actual_access:  read_only
        .address_space:  global
        .offset:         80
        .size:           8
        .value_kind:     global_buffer
      - .actual_access:  read_only
        .address_space:  global
        .offset:         88
        .size:           8
        .value_kind:     global_buffer
      - .actual_access:  read_only
        .address_space:  global
        .offset:         96
        .size:           8
        .value_kind:     global_buffer
      - .actual_access:  write_only
        .address_space:  global
        .offset:         104
        .size:           8
        .value_kind:     global_buffer
      - .actual_access:  write_only
        .address_space:  global
        .offset:         112
        .size:           8
        .value_kind:     global_buffer
      - .offset:         120
        .size:           4
        .value_kind:     by_value
      - .offset:         124
        .size:           4
        .value_kind:     by_value
      - .offset:         128
        .size:           4
        .value_kind:     by_value
      - .offset:         132
        .size:           1
        .value_kind:     by_value
      - .offset:         133
        .size:           1
        .value_kind:     by_value
      - .offset:         134
        .size:           1
        .value_kind:     by_value
    .group_segment_fixed_size: 4352
    .kernarg_segment_align: 8
    .kernarg_segment_size: 136
    .language:       OpenCL C
    .language_version:
      - 2
      - 0
    .max_flat_workgroup_size: 256
    .name:           _ZN9rocsparseL29csrgeam_fill_multipass_kernelILj256ELj32Eii21rocsparse_complex_numIdEEEvllNS_24const_host_device_scalarIT3_EEPKT1_PKT2_PKS4_S5_S8_SB_SD_S8_PS9_PS4_21rocsparse_index_base_SG_SG_bbb
    .private_segment_fixed_size: 24
    .sgpr_count:     34
    .sgpr_spill_count: 0
    .symbol:         _ZN9rocsparseL29csrgeam_fill_multipass_kernelILj256ELj32Eii21rocsparse_complex_numIdEEEvllNS_24const_host_device_scalarIT3_EEPKT1_PKT2_PKS4_S5_S8_SB_SD_S8_PS9_PS4_21rocsparse_index_base_SG_SG_bbb.kd
    .uniform_work_group_size: 1
    .uses_dynamic_stack: false
    .vgpr_count:     44
    .vgpr_spill_count: 0
    .wavefront_size: 64
  - .agpr_count:     0
    .args:
      - .offset:         0
        .size:           8
        .value_kind:     by_value
      - .offset:         8
        .size:           8
        .value_kind:     by_value
      - .offset:         16
        .size:           16
        .value_kind:     by_value
      - .actual_access:  read_only
        .address_space:  global
        .offset:         32
        .size:           8
        .value_kind:     global_buffer
      - .actual_access:  read_only
        .address_space:  global
        .offset:         40
        .size:           8
        .value_kind:     global_buffer
      - .actual_access:  read_only
        .address_space:  global
        .offset:         48
        .size:           8
        .value_kind:     global_buffer
      - .offset:         56
        .size:           16
        .value_kind:     by_value
      - .actual_access:  read_only
        .address_space:  global
        .offset:         72
        .size:           8
        .value_kind:     global_buffer
      - .actual_access:  read_only
        .address_space:  global
        .offset:         80
        .size:           8
        .value_kind:     global_buffer
      - .actual_access:  read_only
        .address_space:  global
        .offset:         88
        .size:           8
        .value_kind:     global_buffer
      - .actual_access:  read_only
        .address_space:  global
        .offset:         96
        .size:           8
        .value_kind:     global_buffer
      - .actual_access:  write_only
        .address_space:  global
        .offset:         104
        .size:           8
        .value_kind:     global_buffer
      - .actual_access:  write_only
        .address_space:  global
        .offset:         112
        .size:           8
        .value_kind:     global_buffer
      - .offset:         120
        .size:           4
        .value_kind:     by_value
      - .offset:         124
        .size:           4
        .value_kind:     by_value
      - .offset:         128
        .size:           4
        .value_kind:     by_value
      - .offset:         132
        .size:           1
        .value_kind:     by_value
      - .offset:         133
        .size:           1
        .value_kind:     by_value
      - .offset:         134
        .size:           1
        .value_kind:     by_value
    .group_segment_fixed_size: 4352
    .kernarg_segment_align: 8
    .kernarg_segment_size: 136
    .language:       OpenCL C
    .language_version:
      - 2
      - 0
    .max_flat_workgroup_size: 256
    .name:           _ZN9rocsparseL29csrgeam_fill_multipass_kernelILj256ELj64Eii21rocsparse_complex_numIdEEEvllNS_24const_host_device_scalarIT3_EEPKT1_PKT2_PKS4_S5_S8_SB_SD_S8_PS9_PS4_21rocsparse_index_base_SG_SG_bbb
    .private_segment_fixed_size: 24
    .sgpr_count:     34
    .sgpr_spill_count: 0
    .symbol:         _ZN9rocsparseL29csrgeam_fill_multipass_kernelILj256ELj64Eii21rocsparse_complex_numIdEEEvllNS_24const_host_device_scalarIT3_EEPKT1_PKT2_PKS4_S5_S8_SB_SD_S8_PS9_PS4_21rocsparse_index_base_SG_SG_bbb.kd
    .uniform_work_group_size: 1
    .uses_dynamic_stack: false
    .vgpr_count:     46
    .vgpr_spill_count: 0
    .wavefront_size: 64
  - .agpr_count:     0
    .args:
      - .offset:         0
        .size:           8
        .value_kind:     by_value
      - .offset:         8
        .size:           8
        .value_kind:     by_value
      - .offset:         16
        .size:           16
        .value_kind:     by_value
      - .actual_access:  read_only
        .address_space:  global
        .offset:         32
        .size:           8
        .value_kind:     global_buffer
      - .actual_access:  read_only
        .address_space:  global
        .offset:         40
        .size:           8
        .value_kind:     global_buffer
      - .actual_access:  read_only
        .address_space:  global
        .offset:         48
        .size:           8
        .value_kind:     global_buffer
      - .offset:         56
        .size:           16
        .value_kind:     by_value
      - .actual_access:  read_only
        .address_space:  global
        .offset:         72
        .size:           8
        .value_kind:     global_buffer
      - .actual_access:  read_only
        .address_space:  global
        .offset:         80
        .size:           8
        .value_kind:     global_buffer
      - .actual_access:  read_only
        .address_space:  global
        .offset:         88
        .size:           8
        .value_kind:     global_buffer
      - .actual_access:  read_only
        .address_space:  global
        .offset:         96
        .size:           8
        .value_kind:     global_buffer
      - .actual_access:  write_only
        .address_space:  global
        .offset:         104
        .size:           8
        .value_kind:     global_buffer
      - .actual_access:  write_only
        .address_space:  global
        .offset:         112
        .size:           8
        .value_kind:     global_buffer
      - .offset:         120
        .size:           4
        .value_kind:     by_value
      - .offset:         124
        .size:           4
        .value_kind:     by_value
      - .offset:         128
        .size:           4
        .value_kind:     by_value
      - .offset:         132
        .size:           1
        .value_kind:     by_value
      - .offset:         133
        .size:           1
        .value_kind:     by_value
      - .offset:         134
        .size:           1
        .value_kind:     by_value
    .group_segment_fixed_size: 4352
    .kernarg_segment_align: 8
    .kernarg_segment_size: 136
    .language:       OpenCL C
    .language_version:
      - 2
      - 0
    .max_flat_workgroup_size: 256
    .name:           _ZN9rocsparseL29csrgeam_fill_multipass_kernelILj256ELj32Eli21rocsparse_complex_numIdEEEvllNS_24const_host_device_scalarIT3_EEPKT1_PKT2_PKS4_S5_S8_SB_SD_S8_PS9_PS4_21rocsparse_index_base_SG_SG_bbb
    .private_segment_fixed_size: 24
    .sgpr_count:     38
    .sgpr_spill_count: 0
    .symbol:         _ZN9rocsparseL29csrgeam_fill_multipass_kernelILj256ELj32Eli21rocsparse_complex_numIdEEEvllNS_24const_host_device_scalarIT3_EEPKT1_PKT2_PKS4_S5_S8_SB_SD_S8_PS9_PS4_21rocsparse_index_base_SG_SG_bbb.kd
    .uniform_work_group_size: 1
    .uses_dynamic_stack: false
    .vgpr_count:     52
    .vgpr_spill_count: 0
    .wavefront_size: 64
  - .agpr_count:     0
    .args:
      - .offset:         0
        .size:           8
        .value_kind:     by_value
      - .offset:         8
        .size:           8
        .value_kind:     by_value
      - .offset:         16
        .size:           16
        .value_kind:     by_value
      - .actual_access:  read_only
        .address_space:  global
        .offset:         32
        .size:           8
        .value_kind:     global_buffer
      - .actual_access:  read_only
        .address_space:  global
        .offset:         40
        .size:           8
        .value_kind:     global_buffer
      - .actual_access:  read_only
        .address_space:  global
        .offset:         48
        .size:           8
        .value_kind:     global_buffer
      - .offset:         56
        .size:           16
        .value_kind:     by_value
      - .actual_access:  read_only
        .address_space:  global
        .offset:         72
        .size:           8
        .value_kind:     global_buffer
      - .actual_access:  read_only
        .address_space:  global
        .offset:         80
        .size:           8
        .value_kind:     global_buffer
      - .actual_access:  read_only
        .address_space:  global
        .offset:         88
        .size:           8
        .value_kind:     global_buffer
      - .actual_access:  read_only
        .address_space:  global
        .offset:         96
        .size:           8
        .value_kind:     global_buffer
      - .actual_access:  write_only
        .address_space:  global
        .offset:         104
        .size:           8
        .value_kind:     global_buffer
      - .actual_access:  write_only
        .address_space:  global
        .offset:         112
        .size:           8
        .value_kind:     global_buffer
      - .offset:         120
        .size:           4
        .value_kind:     by_value
      - .offset:         124
        .size:           4
        .value_kind:     by_value
      - .offset:         128
        .size:           4
        .value_kind:     by_value
      - .offset:         132
        .size:           1
        .value_kind:     by_value
      - .offset:         133
        .size:           1
        .value_kind:     by_value
      - .offset:         134
        .size:           1
        .value_kind:     by_value
    .group_segment_fixed_size: 4352
    .kernarg_segment_align: 8
    .kernarg_segment_size: 136
    .language:       OpenCL C
    .language_version:
      - 2
      - 0
    .max_flat_workgroup_size: 256
    .name:           _ZN9rocsparseL29csrgeam_fill_multipass_kernelILj256ELj64Eli21rocsparse_complex_numIdEEEvllNS_24const_host_device_scalarIT3_EEPKT1_PKT2_PKS4_S5_S8_SB_SD_S8_PS9_PS4_21rocsparse_index_base_SG_SG_bbb
    .private_segment_fixed_size: 24
    .sgpr_count:     38
    .sgpr_spill_count: 0
    .symbol:         _ZN9rocsparseL29csrgeam_fill_multipass_kernelILj256ELj64Eli21rocsparse_complex_numIdEEEvllNS_24const_host_device_scalarIT3_EEPKT1_PKT2_PKS4_S5_S8_SB_SD_S8_PS9_PS4_21rocsparse_index_base_SG_SG_bbb.kd
    .uniform_work_group_size: 1
    .uses_dynamic_stack: false
    .vgpr_count:     54
    .vgpr_spill_count: 0
    .wavefront_size: 64
  - .agpr_count:     0
    .args:
      - .offset:         0
        .size:           8
        .value_kind:     by_value
      - .offset:         8
        .size:           8
        .value_kind:     by_value
      - .offset:         16
        .size:           16
        .value_kind:     by_value
      - .actual_access:  read_only
        .address_space:  global
        .offset:         32
        .size:           8
        .value_kind:     global_buffer
      - .actual_access:  read_only
        .address_space:  global
        .offset:         40
        .size:           8
        .value_kind:     global_buffer
      - .actual_access:  read_only
        .address_space:  global
        .offset:         48
        .size:           8
        .value_kind:     global_buffer
      - .offset:         56
        .size:           16
        .value_kind:     by_value
      - .actual_access:  read_only
        .address_space:  global
        .offset:         72
        .size:           8
        .value_kind:     global_buffer
      - .actual_access:  read_only
        .address_space:  global
        .offset:         80
        .size:           8
        .value_kind:     global_buffer
      - .actual_access:  read_only
        .address_space:  global
        .offset:         88
        .size:           8
        .value_kind:     global_buffer
      - .actual_access:  read_only
        .address_space:  global
        .offset:         96
        .size:           8
        .value_kind:     global_buffer
      - .actual_access:  write_only
        .address_space:  global
        .offset:         104
        .size:           8
        .value_kind:     global_buffer
      - .actual_access:  write_only
        .address_space:  global
        .offset:         112
        .size:           8
        .value_kind:     global_buffer
      - .offset:         120
        .size:           4
        .value_kind:     by_value
      - .offset:         124
        .size:           4
        .value_kind:     by_value
      - .offset:         128
        .size:           4
        .value_kind:     by_value
      - .offset:         132
        .size:           1
        .value_kind:     by_value
      - .offset:         133
        .size:           1
        .value_kind:     by_value
      - .offset:         134
        .size:           1
        .value_kind:     by_value
    .group_segment_fixed_size: 4352
    .kernarg_segment_align: 8
    .kernarg_segment_size: 136
    .language:       OpenCL C
    .language_version:
      - 2
      - 0
    .max_flat_workgroup_size: 256
    .name:           _ZN9rocsparseL29csrgeam_fill_multipass_kernelILj256ELj32Ell21rocsparse_complex_numIdEEEvllNS_24const_host_device_scalarIT3_EEPKT1_PKT2_PKS4_S5_S8_SB_SD_S8_PS9_PS4_21rocsparse_index_base_SG_SG_bbb
    .private_segment_fixed_size: 24
    .sgpr_count:     40
    .sgpr_spill_count: 0
    .symbol:         _ZN9rocsparseL29csrgeam_fill_multipass_kernelILj256ELj32Ell21rocsparse_complex_numIdEEEvllNS_24const_host_device_scalarIT3_EEPKT1_PKT2_PKS4_S5_S8_SB_SD_S8_PS9_PS4_21rocsparse_index_base_SG_SG_bbb.kd
    .uniform_work_group_size: 1
    .uses_dynamic_stack: false
    .vgpr_count:     58
    .vgpr_spill_count: 0
    .wavefront_size: 64
  - .agpr_count:     0
    .args:
      - .offset:         0
        .size:           8
        .value_kind:     by_value
      - .offset:         8
        .size:           8
        .value_kind:     by_value
      - .offset:         16
        .size:           16
        .value_kind:     by_value
      - .actual_access:  read_only
        .address_space:  global
        .offset:         32
        .size:           8
        .value_kind:     global_buffer
      - .actual_access:  read_only
        .address_space:  global
        .offset:         40
        .size:           8
        .value_kind:     global_buffer
      - .actual_access:  read_only
        .address_space:  global
        .offset:         48
        .size:           8
        .value_kind:     global_buffer
      - .offset:         56
        .size:           16
        .value_kind:     by_value
      - .actual_access:  read_only
        .address_space:  global
        .offset:         72
        .size:           8
        .value_kind:     global_buffer
      - .actual_access:  read_only
        .address_space:  global
        .offset:         80
        .size:           8
        .value_kind:     global_buffer
      - .actual_access:  read_only
        .address_space:  global
        .offset:         88
        .size:           8
        .value_kind:     global_buffer
      - .actual_access:  read_only
        .address_space:  global
        .offset:         96
        .size:           8
        .value_kind:     global_buffer
      - .actual_access:  write_only
        .address_space:  global
        .offset:         104
        .size:           8
        .value_kind:     global_buffer
      - .actual_access:  write_only
        .address_space:  global
        .offset:         112
        .size:           8
        .value_kind:     global_buffer
      - .offset:         120
        .size:           4
        .value_kind:     by_value
      - .offset:         124
        .size:           4
        .value_kind:     by_value
      - .offset:         128
        .size:           4
        .value_kind:     by_value
      - .offset:         132
        .size:           1
        .value_kind:     by_value
      - .offset:         133
        .size:           1
        .value_kind:     by_value
      - .offset:         134
        .size:           1
        .value_kind:     by_value
    .group_segment_fixed_size: 4352
    .kernarg_segment_align: 8
    .kernarg_segment_size: 136
    .language:       OpenCL C
    .language_version:
      - 2
      - 0
    .max_flat_workgroup_size: 256
    .name:           _ZN9rocsparseL29csrgeam_fill_multipass_kernelILj256ELj64Ell21rocsparse_complex_numIdEEEvllNS_24const_host_device_scalarIT3_EEPKT1_PKT2_PKS4_S5_S8_SB_SD_S8_PS9_PS4_21rocsparse_index_base_SG_SG_bbb
    .private_segment_fixed_size: 24
    .sgpr_count:     40
    .sgpr_spill_count: 0
    .symbol:         _ZN9rocsparseL29csrgeam_fill_multipass_kernelILj256ELj64Ell21rocsparse_complex_numIdEEEvllNS_24const_host_device_scalarIT3_EEPKT1_PKT2_PKS4_S5_S8_SB_SD_S8_PS9_PS4_21rocsparse_index_base_SG_SG_bbb.kd
    .uniform_work_group_size: 1
    .uses_dynamic_stack: false
    .vgpr_count:     60
    .vgpr_spill_count: 0
    .wavefront_size: 64
amdhsa.target:   amdgcn-amd-amdhsa--gfx950
amdhsa.version:
  - 1
  - 2
...

	.end_amdgpu_metadata
